;; amdgpu-corpus repo=ROCm/composable_kernel kind=compiled arch=gfx950 opt=O3
	.amdgcn_target "amdgcn-amd-amdhsa--gfx950"
	.amdhsa_code_object_version 6
	.section	.text._ZN2ckL12flush_icacheEv,"axG",@progbits,_ZN2ckL12flush_icacheEv,comdat
	.globl	_ZN2ckL12flush_icacheEv         ; -- Begin function _ZN2ckL12flush_icacheEv
	.p2align	8
	.type	_ZN2ckL12flush_icacheEv,@function
_ZN2ckL12flush_icacheEv:                ; @_ZN2ckL12flush_icacheEv
; %bb.0:
	;;#ASMSTART
	s_icache_inv 
	s_nop 0 
	s_nop 0 
	;; [unrolled: 1-line block ×16, first 2 shown]
	
	;;#ASMEND
	s_endpgm
	.section	.rodata,"a",@progbits
	.p2align	6, 0x0
	.amdhsa_kernel _ZN2ckL12flush_icacheEv
		.amdhsa_group_segment_fixed_size 0
		.amdhsa_private_segment_fixed_size 0
		.amdhsa_kernarg_size 0
		.amdhsa_user_sgpr_count 0
		.amdhsa_user_sgpr_dispatch_ptr 0
		.amdhsa_user_sgpr_queue_ptr 0
		.amdhsa_user_sgpr_kernarg_segment_ptr 0
		.amdhsa_user_sgpr_dispatch_id 0
		.amdhsa_user_sgpr_kernarg_preload_length 0
		.amdhsa_user_sgpr_kernarg_preload_offset 0
		.amdhsa_user_sgpr_private_segment_size 0
		.amdhsa_uses_dynamic_stack 0
		.amdhsa_enable_private_segment 0
		.amdhsa_system_sgpr_workgroup_id_x 1
		.amdhsa_system_sgpr_workgroup_id_y 0
		.amdhsa_system_sgpr_workgroup_id_z 0
		.amdhsa_system_sgpr_workgroup_info 0
		.amdhsa_system_vgpr_workitem_id 0
		.amdhsa_next_free_vgpr 1
		.amdhsa_next_free_sgpr 0
		.amdhsa_accum_offset 4
		.amdhsa_reserve_vcc 0
		.amdhsa_float_round_mode_32 0
		.amdhsa_float_round_mode_16_64 0
		.amdhsa_float_denorm_mode_32 3
		.amdhsa_float_denorm_mode_16_64 3
		.amdhsa_dx10_clamp 1
		.amdhsa_ieee_mode 1
		.amdhsa_fp16_overflow 0
		.amdhsa_tg_split 0
		.amdhsa_exception_fp_ieee_invalid_op 0
		.amdhsa_exception_fp_denorm_src 0
		.amdhsa_exception_fp_ieee_div_zero 0
		.amdhsa_exception_fp_ieee_overflow 0
		.amdhsa_exception_fp_ieee_underflow 0
		.amdhsa_exception_fp_ieee_inexact 0
		.amdhsa_exception_int_div_zero 0
	.end_amdhsa_kernel
	.section	.text._ZN2ckL12flush_icacheEv,"axG",@progbits,_ZN2ckL12flush_icacheEv,comdat
.Lfunc_end0:
	.size	_ZN2ckL12flush_icacheEv, .Lfunc_end0-_ZN2ckL12flush_icacheEv
                                        ; -- End function
	.set _ZN2ckL12flush_icacheEv.num_vgpr, 0
	.set _ZN2ckL12flush_icacheEv.num_agpr, 0
	.set _ZN2ckL12flush_icacheEv.numbered_sgpr, 0
	.set _ZN2ckL12flush_icacheEv.num_named_barrier, 0
	.set _ZN2ckL12flush_icacheEv.private_seg_size, 0
	.set _ZN2ckL12flush_icacheEv.uses_vcc, 0
	.set _ZN2ckL12flush_icacheEv.uses_flat_scratch, 0
	.set _ZN2ckL12flush_icacheEv.has_dyn_sized_stack, 0
	.set _ZN2ckL12flush_icacheEv.has_recursion, 0
	.set _ZN2ckL12flush_icacheEv.has_indirect_call, 0
	.section	.AMDGPU.csdata,"",@progbits
; Kernel info:
; codeLenInByte = 276
; TotalNumSgprs: 6
; NumVgprs: 0
; NumAgprs: 0
; TotalNumVgprs: 0
; ScratchSize: 0
; MemoryBound: 0
; FloatMode: 240
; IeeeMode: 1
; LDSByteSize: 0 bytes/workgroup (compile time only)
; SGPRBlocks: 0
; VGPRBlocks: 0
; NumSGPRsForWavesPerEU: 6
; NumVGPRsForWavesPerEU: 1
; AccumOffset: 4
; Occupancy: 8
; WaveLimiterHint : 0
; COMPUTE_PGM_RSRC2:SCRATCH_EN: 0
; COMPUTE_PGM_RSRC2:USER_SGPR: 0
; COMPUTE_PGM_RSRC2:TRAP_HANDLER: 0
; COMPUTE_PGM_RSRC2:TGID_X_EN: 1
; COMPUTE_PGM_RSRC2:TGID_Y_EN: 0
; COMPUTE_PGM_RSRC2:TGID_Z_EN: 0
; COMPUTE_PGM_RSRC2:TIDIG_COMP_CNT: 0
; COMPUTE_PGM_RSRC3_GFX90A:ACCUM_OFFSET: 0
; COMPUTE_PGM_RSRC3_GFX90A:TG_SPLIT: 0
	.section	.text._ZN2ck32kernel_gemm_xdlops_skip_b_lds_v1INS_48GridwiseGemm_k0mk1_k0nk1_mn_xdlops_skip_b_lds_v1ILi256EfffLNS_25InMemoryDataOperationEnumE0ENS_16TensorDescriptorINS_5TupleIJNS_5EmbedINS4_IJiiEEENS4_IJiNS_17integral_constantIiLi1EEEEEELb0EEENS_7UnMergeINS4_IJiNS7_IiLi4EEEEEELb0EEENS_11PassThroughIiEEEEENS4_IJNS_8SequenceIJLi0EEEENSI_IJLi2EEEENSI_IJLi1EEEEEEENS4_IJNSI_IJLi1ELi2EEEENSI_IJLi3ELi4EEEENSI_IJLi5EEEEEEENSI_IJLi3ELi5ELi4EEEElEENS3_INS4_IJNS5_IS6_NS4_IJS8_iEEELb0EEESE_SG_EEENS4_IJSJ_SL_SK_EEESQ_SR_lEENS3_INS4_IJSA_SG_SG_EEESW_NS4_IJSN_NSI_IJLi3EEEENSI_IJLi4EEEEEEESO_lEENS_16tensor_operation12element_wise11PassThroughES15_S15_Li16ELi128ELi4ELi16ELi16ELi4ELi1ELi2ENSI_IJLi16ELi16ELi1EEEENSI_IJLi1ELi0ELi2EEEES17_Li2ELi4ELi4ELb0ELb1ELi4ELb0ELi4ENSI_IJLi0ELi2ELi4ELi5ELi6ELi1ELi3ELi7EEEELi7ELi1EEEffSS_SX_S12_S15_S15_S15_NS_13TensorAdaptorINS4_IJNSB_IS6_Lb0EEES1B_NS_23Merge_v2_magic_divisionINS4_IJiiiiEEEEEEEENS4_IJSJ_SL_NSI_IJLi2ELi3ELi4ELi5EEEEEEENS4_IJNSI_IJLi2ELi4EEEENSI_IJLi3ELi5EEEENSI_IJLi6EEEEEEENSI_IJLi0ELi1EEEES1K_EELb1EEEvPKT0_S1Q_PT1_T2_T3_T4_T5_T6_T7_T8_,"axG",@progbits,_ZN2ck32kernel_gemm_xdlops_skip_b_lds_v1INS_48GridwiseGemm_k0mk1_k0nk1_mn_xdlops_skip_b_lds_v1ILi256EfffLNS_25InMemoryDataOperationEnumE0ENS_16TensorDescriptorINS_5TupleIJNS_5EmbedINS4_IJiiEEENS4_IJiNS_17integral_constantIiLi1EEEEEELb0EEENS_7UnMergeINS4_IJiNS7_IiLi4EEEEEELb0EEENS_11PassThroughIiEEEEENS4_IJNS_8SequenceIJLi0EEEENSI_IJLi2EEEENSI_IJLi1EEEEEEENS4_IJNSI_IJLi1ELi2EEEENSI_IJLi3ELi4EEEENSI_IJLi5EEEEEEENSI_IJLi3ELi5ELi4EEEElEENS3_INS4_IJNS5_IS6_NS4_IJS8_iEEELb0EEESE_SG_EEENS4_IJSJ_SL_SK_EEESQ_SR_lEENS3_INS4_IJSA_SG_SG_EEESW_NS4_IJSN_NSI_IJLi3EEEENSI_IJLi4EEEEEEESO_lEENS_16tensor_operation12element_wise11PassThroughES15_S15_Li16ELi128ELi4ELi16ELi16ELi4ELi1ELi2ENSI_IJLi16ELi16ELi1EEEENSI_IJLi1ELi0ELi2EEEES17_Li2ELi4ELi4ELb0ELb1ELi4ELb0ELi4ENSI_IJLi0ELi2ELi4ELi5ELi6ELi1ELi3ELi7EEEELi7ELi1EEEffSS_SX_S12_S15_S15_S15_NS_13TensorAdaptorINS4_IJNSB_IS6_Lb0EEES1B_NS_23Merge_v2_magic_divisionINS4_IJiiiiEEEEEEEENS4_IJSJ_SL_NSI_IJLi2ELi3ELi4ELi5EEEEEEENS4_IJNSI_IJLi2ELi4EEEENSI_IJLi3ELi5EEEENSI_IJLi6EEEEEEENSI_IJLi0ELi1EEEES1K_EELb1EEEvPKT0_S1Q_PT1_T2_T3_T4_T5_T6_T7_T8_,comdat
	.protected	_ZN2ck32kernel_gemm_xdlops_skip_b_lds_v1INS_48GridwiseGemm_k0mk1_k0nk1_mn_xdlops_skip_b_lds_v1ILi256EfffLNS_25InMemoryDataOperationEnumE0ENS_16TensorDescriptorINS_5TupleIJNS_5EmbedINS4_IJiiEEENS4_IJiNS_17integral_constantIiLi1EEEEEELb0EEENS_7UnMergeINS4_IJiNS7_IiLi4EEEEEELb0EEENS_11PassThroughIiEEEEENS4_IJNS_8SequenceIJLi0EEEENSI_IJLi2EEEENSI_IJLi1EEEEEEENS4_IJNSI_IJLi1ELi2EEEENSI_IJLi3ELi4EEEENSI_IJLi5EEEEEEENSI_IJLi3ELi5ELi4EEEElEENS3_INS4_IJNS5_IS6_NS4_IJS8_iEEELb0EEESE_SG_EEENS4_IJSJ_SL_SK_EEESQ_SR_lEENS3_INS4_IJSA_SG_SG_EEESW_NS4_IJSN_NSI_IJLi3EEEENSI_IJLi4EEEEEEESO_lEENS_16tensor_operation12element_wise11PassThroughES15_S15_Li16ELi128ELi4ELi16ELi16ELi4ELi1ELi2ENSI_IJLi16ELi16ELi1EEEENSI_IJLi1ELi0ELi2EEEES17_Li2ELi4ELi4ELb0ELb1ELi4ELb0ELi4ENSI_IJLi0ELi2ELi4ELi5ELi6ELi1ELi3ELi7EEEELi7ELi1EEEffSS_SX_S12_S15_S15_S15_NS_13TensorAdaptorINS4_IJNSB_IS6_Lb0EEES1B_NS_23Merge_v2_magic_divisionINS4_IJiiiiEEEEEEEENS4_IJSJ_SL_NSI_IJLi2ELi3ELi4ELi5EEEEEEENS4_IJNSI_IJLi2ELi4EEEENSI_IJLi3ELi5EEEENSI_IJLi6EEEEEEENSI_IJLi0ELi1EEEES1K_EELb1EEEvPKT0_S1Q_PT1_T2_T3_T4_T5_T6_T7_T8_ ; -- Begin function _ZN2ck32kernel_gemm_xdlops_skip_b_lds_v1INS_48GridwiseGemm_k0mk1_k0nk1_mn_xdlops_skip_b_lds_v1ILi256EfffLNS_25InMemoryDataOperationEnumE0ENS_16TensorDescriptorINS_5TupleIJNS_5EmbedINS4_IJiiEEENS4_IJiNS_17integral_constantIiLi1EEEEEELb0EEENS_7UnMergeINS4_IJiNS7_IiLi4EEEEEELb0EEENS_11PassThroughIiEEEEENS4_IJNS_8SequenceIJLi0EEEENSI_IJLi2EEEENSI_IJLi1EEEEEEENS4_IJNSI_IJLi1ELi2EEEENSI_IJLi3ELi4EEEENSI_IJLi5EEEEEEENSI_IJLi3ELi5ELi4EEEElEENS3_INS4_IJNS5_IS6_NS4_IJS8_iEEELb0EEESE_SG_EEENS4_IJSJ_SL_SK_EEESQ_SR_lEENS3_INS4_IJSA_SG_SG_EEESW_NS4_IJSN_NSI_IJLi3EEEENSI_IJLi4EEEEEEESO_lEENS_16tensor_operation12element_wise11PassThroughES15_S15_Li16ELi128ELi4ELi16ELi16ELi4ELi1ELi2ENSI_IJLi16ELi16ELi1EEEENSI_IJLi1ELi0ELi2EEEES17_Li2ELi4ELi4ELb0ELb1ELi4ELb0ELi4ENSI_IJLi0ELi2ELi4ELi5ELi6ELi1ELi3ELi7EEEELi7ELi1EEEffSS_SX_S12_S15_S15_S15_NS_13TensorAdaptorINS4_IJNSB_IS6_Lb0EEES1B_NS_23Merge_v2_magic_divisionINS4_IJiiiiEEEEEEEENS4_IJSJ_SL_NSI_IJLi2ELi3ELi4ELi5EEEEEEENS4_IJNSI_IJLi2ELi4EEEENSI_IJLi3ELi5EEEENSI_IJLi6EEEEEEENSI_IJLi0ELi1EEEES1K_EELb1EEEvPKT0_S1Q_PT1_T2_T3_T4_T5_T6_T7_T8_
	.globl	_ZN2ck32kernel_gemm_xdlops_skip_b_lds_v1INS_48GridwiseGemm_k0mk1_k0nk1_mn_xdlops_skip_b_lds_v1ILi256EfffLNS_25InMemoryDataOperationEnumE0ENS_16TensorDescriptorINS_5TupleIJNS_5EmbedINS4_IJiiEEENS4_IJiNS_17integral_constantIiLi1EEEEEELb0EEENS_7UnMergeINS4_IJiNS7_IiLi4EEEEEELb0EEENS_11PassThroughIiEEEEENS4_IJNS_8SequenceIJLi0EEEENSI_IJLi2EEEENSI_IJLi1EEEEEEENS4_IJNSI_IJLi1ELi2EEEENSI_IJLi3ELi4EEEENSI_IJLi5EEEEEEENSI_IJLi3ELi5ELi4EEEElEENS3_INS4_IJNS5_IS6_NS4_IJS8_iEEELb0EEESE_SG_EEENS4_IJSJ_SL_SK_EEESQ_SR_lEENS3_INS4_IJSA_SG_SG_EEESW_NS4_IJSN_NSI_IJLi3EEEENSI_IJLi4EEEEEEESO_lEENS_16tensor_operation12element_wise11PassThroughES15_S15_Li16ELi128ELi4ELi16ELi16ELi4ELi1ELi2ENSI_IJLi16ELi16ELi1EEEENSI_IJLi1ELi0ELi2EEEES17_Li2ELi4ELi4ELb0ELb1ELi4ELb0ELi4ENSI_IJLi0ELi2ELi4ELi5ELi6ELi1ELi3ELi7EEEELi7ELi1EEEffSS_SX_S12_S15_S15_S15_NS_13TensorAdaptorINS4_IJNSB_IS6_Lb0EEES1B_NS_23Merge_v2_magic_divisionINS4_IJiiiiEEEEEEEENS4_IJSJ_SL_NSI_IJLi2ELi3ELi4ELi5EEEEEEENS4_IJNSI_IJLi2ELi4EEEENSI_IJLi3ELi5EEEENSI_IJLi6EEEEEEENSI_IJLi0ELi1EEEES1K_EELb1EEEvPKT0_S1Q_PT1_T2_T3_T4_T5_T6_T7_T8_
	.p2align	8
	.type	_ZN2ck32kernel_gemm_xdlops_skip_b_lds_v1INS_48GridwiseGemm_k0mk1_k0nk1_mn_xdlops_skip_b_lds_v1ILi256EfffLNS_25InMemoryDataOperationEnumE0ENS_16TensorDescriptorINS_5TupleIJNS_5EmbedINS4_IJiiEEENS4_IJiNS_17integral_constantIiLi1EEEEEELb0EEENS_7UnMergeINS4_IJiNS7_IiLi4EEEEEELb0EEENS_11PassThroughIiEEEEENS4_IJNS_8SequenceIJLi0EEEENSI_IJLi2EEEENSI_IJLi1EEEEEEENS4_IJNSI_IJLi1ELi2EEEENSI_IJLi3ELi4EEEENSI_IJLi5EEEEEEENSI_IJLi3ELi5ELi4EEEElEENS3_INS4_IJNS5_IS6_NS4_IJS8_iEEELb0EEESE_SG_EEENS4_IJSJ_SL_SK_EEESQ_SR_lEENS3_INS4_IJSA_SG_SG_EEESW_NS4_IJSN_NSI_IJLi3EEEENSI_IJLi4EEEEEEESO_lEENS_16tensor_operation12element_wise11PassThroughES15_S15_Li16ELi128ELi4ELi16ELi16ELi4ELi1ELi2ENSI_IJLi16ELi16ELi1EEEENSI_IJLi1ELi0ELi2EEEES17_Li2ELi4ELi4ELb0ELb1ELi4ELb0ELi4ENSI_IJLi0ELi2ELi4ELi5ELi6ELi1ELi3ELi7EEEELi7ELi1EEEffSS_SX_S12_S15_S15_S15_NS_13TensorAdaptorINS4_IJNSB_IS6_Lb0EEES1B_NS_23Merge_v2_magic_divisionINS4_IJiiiiEEEEEEEENS4_IJSJ_SL_NSI_IJLi2ELi3ELi4ELi5EEEEEEENS4_IJNSI_IJLi2ELi4EEEENSI_IJLi3ELi5EEEENSI_IJLi6EEEEEEENSI_IJLi0ELi1EEEES1K_EELb1EEEvPKT0_S1Q_PT1_T2_T3_T4_T5_T6_T7_T8_,@function
_ZN2ck32kernel_gemm_xdlops_skip_b_lds_v1INS_48GridwiseGemm_k0mk1_k0nk1_mn_xdlops_skip_b_lds_v1ILi256EfffLNS_25InMemoryDataOperationEnumE0ENS_16TensorDescriptorINS_5TupleIJNS_5EmbedINS4_IJiiEEENS4_IJiNS_17integral_constantIiLi1EEEEEELb0EEENS_7UnMergeINS4_IJiNS7_IiLi4EEEEEELb0EEENS_11PassThroughIiEEEEENS4_IJNS_8SequenceIJLi0EEEENSI_IJLi2EEEENSI_IJLi1EEEEEEENS4_IJNSI_IJLi1ELi2EEEENSI_IJLi3ELi4EEEENSI_IJLi5EEEEEEENSI_IJLi3ELi5ELi4EEEElEENS3_INS4_IJNS5_IS6_NS4_IJS8_iEEELb0EEESE_SG_EEENS4_IJSJ_SL_SK_EEESQ_SR_lEENS3_INS4_IJSA_SG_SG_EEESW_NS4_IJSN_NSI_IJLi3EEEENSI_IJLi4EEEEEEESO_lEENS_16tensor_operation12element_wise11PassThroughES15_S15_Li16ELi128ELi4ELi16ELi16ELi4ELi1ELi2ENSI_IJLi16ELi16ELi1EEEENSI_IJLi1ELi0ELi2EEEES17_Li2ELi4ELi4ELb0ELb1ELi4ELb0ELi4ENSI_IJLi0ELi2ELi4ELi5ELi6ELi1ELi3ELi7EEEELi7ELi1EEEffSS_SX_S12_S15_S15_S15_NS_13TensorAdaptorINS4_IJNSB_IS6_Lb0EEES1B_NS_23Merge_v2_magic_divisionINS4_IJiiiiEEEEEEEENS4_IJSJ_SL_NSI_IJLi2ELi3ELi4ELi5EEEEEEENS4_IJNSI_IJLi2ELi4EEEENSI_IJLi3ELi5EEEENSI_IJLi6EEEEEEENSI_IJLi0ELi1EEEES1K_EELb1EEEvPKT0_S1Q_PT1_T2_T3_T4_T5_T6_T7_T8_: ; @_ZN2ck32kernel_gemm_xdlops_skip_b_lds_v1INS_48GridwiseGemm_k0mk1_k0nk1_mn_xdlops_skip_b_lds_v1ILi256EfffLNS_25InMemoryDataOperationEnumE0ENS_16TensorDescriptorINS_5TupleIJNS_5EmbedINS4_IJiiEEENS4_IJiNS_17integral_constantIiLi1EEEEEELb0EEENS_7UnMergeINS4_IJiNS7_IiLi4EEEEEELb0EEENS_11PassThroughIiEEEEENS4_IJNS_8SequenceIJLi0EEEENSI_IJLi2EEEENSI_IJLi1EEEEEEENS4_IJNSI_IJLi1ELi2EEEENSI_IJLi3ELi4EEEENSI_IJLi5EEEEEEENSI_IJLi3ELi5ELi4EEEElEENS3_INS4_IJNS5_IS6_NS4_IJS8_iEEELb0EEESE_SG_EEENS4_IJSJ_SL_SK_EEESQ_SR_lEENS3_INS4_IJSA_SG_SG_EEESW_NS4_IJSN_NSI_IJLi3EEEENSI_IJLi4EEEEEEESO_lEENS_16tensor_operation12element_wise11PassThroughES15_S15_Li16ELi128ELi4ELi16ELi16ELi4ELi1ELi2ENSI_IJLi16ELi16ELi1EEEENSI_IJLi1ELi0ELi2EEEES17_Li2ELi4ELi4ELb0ELb1ELi4ELb0ELi4ENSI_IJLi0ELi2ELi4ELi5ELi6ELi1ELi3ELi7EEEELi7ELi1EEEffSS_SX_S12_S15_S15_S15_NS_13TensorAdaptorINS4_IJNSB_IS6_Lb0EEES1B_NS_23Merge_v2_magic_divisionINS4_IJiiiiEEEEEEEENS4_IJSJ_SL_NSI_IJLi2ELi3ELi4ELi5EEEEEEENS4_IJNSI_IJLi2ELi4EEEENSI_IJLi3ELi5EEEENSI_IJLi6EEEEEEENSI_IJLi0ELi1EEEES1K_EELb1EEEvPKT0_S1Q_PT1_T2_T3_T4_T5_T6_T7_T8_
; %bb.0:
	s_load_dwordx8 s[20:27], s[0:1], 0xd8
	s_load_dwordx4 s[12:15], s[0:1], 0x0
	s_load_dwordx2 s[4:5], s[0:1], 0x10
                                        ; kill: killed $sgpr0_sgpr1
	v_lshrrev_b32_e32 v2, 4, v0
	v_and_b32_e32 v1, 15, v0
	s_waitcnt lgkmcnt(0)
	s_mul_hi_u32 s3, s22, s2
	s_add_i32 s3, s2, s3
	s_lshr_b32 s3, s3, s26
	s_mul_hi_u32 s6, s3, s21
	s_add_i32 s8, s3, s6
	s_load_dwordx2 s[18:19], s[0:1], 0xc8
	s_load_dword s17, s[0:1], 0xd0
	s_load_dword s21, s[0:1], 0xbc
	;; [unrolled: 1-line block ×8, first 2 shown]
	s_load_dwordx2 s[6:7], s[0:1], 0x98
	s_waitcnt lgkmcnt(0)
	s_load_dword s7, s[0:1], 0xac
	s_lshr_b32 s25, s8, s25
	s_mul_hi_u32 s0, s25, s20
	s_add_i32 s0, s25, s0
	s_lshr_b32 s20, s0, s24
	s_mul_i32 s0, s25, s19
	s_waitcnt lgkmcnt(0)
	s_mul_i32 s7, s20, s7
	s_sub_i32 s0, s3, s0
	s_add_i32 s7, s7, s0
	v_lshl_or_b32 v2, s7, 4, v2
	v_lshlrev_b32_e32 v3, 2, v1
	v_mul_lo_u32 v2, v2, s9
	s_lshl_b32 s10, s10, 2
	s_and_b32 s9, s13, 0xffff
	s_mov_b32 s11, 0x20000
	s_mov_b32 s8, s12
	v_add_lshl_u32 v38, v2, v3, 2
	s_getpc_b64 s[0:1]
	s_add_u32 s0, s0, _ZN2ck10XdlopsGemmIfLi16ELi16ELi4EfLb0ELb0EE11K0PerXdlopsE@rel32@lo+4
	s_addc_u32 s1, s1, _ZN2ck10XdlopsGemmIfLi16ELi16ELi4EfLb0ELb0EE11K0PerXdlopsE@rel32@hi+12
	buffer_load_dwordx4 v[34:37], v38, s[8:11], 0 offen
	s_load_dword s8, s[0:1], 0x0
	s_getpc_b64 s[0:1]
	s_add_u32 s0, s0, _ZN2ck48GridwiseGemm_k0mk1_k0nk1_mn_xdlops_skip_b_lds_v1ILi256EfffLNS_25InMemoryDataOperationEnumE0ENS_16TensorDescriptorINS_5TupleIJNS_5EmbedINS3_IJiiEEENS3_IJiNS_17integral_constantIiLi1EEEEEELb0EEENS_7UnMergeINS3_IJiNS6_IiLi4EEEEEELb0EEENS_11PassThroughIiEEEEENS3_IJNS_8SequenceIJLi0EEEENSH_IJLi2EEEENSH_IJLi1EEEEEEENS3_IJNSH_IJLi1ELi2EEEENSH_IJLi3ELi4EEEENSH_IJLi5EEEEEEENSH_IJLi3ELi5ELi4EEEElEENS2_INS3_IJNS4_IS5_NS3_IJS7_iEEELb0EEESD_SF_EEENS3_IJSI_SK_SJ_EEESP_SQ_lEENS2_INS3_IJS9_SF_SF_EEESV_NS3_IJSM_NSH_IJLi3EEEENSH_IJLi4EEEEEEESN_lEENS_16tensor_operation12element_wise11PassThroughES14_S14_Li16ELi128ELi4ELi16ELi16ELi4ELi1ELi2ENSH_IJLi16ELi16ELi1EEEENSH_IJLi1ELi0ELi2EEEES16_Li2ELi4ELi4ELb0ELb1ELi4ELb0ELi4ENSH_IJLi0ELi2ELi4ELi5ELi6ELi1ELi3ELi7EEEELi7ELi1EE11K0PerThreadE@rel32@lo+4
	s_addc_u32 s1, s1, _ZN2ck48GridwiseGemm_k0mk1_k0nk1_mn_xdlops_skip_b_lds_v1ILi256EfffLNS_25InMemoryDataOperationEnumE0ENS_16TensorDescriptorINS_5TupleIJNS_5EmbedINS3_IJiiEEENS3_IJiNS_17integral_constantIiLi1EEEEEELb0EEENS_7UnMergeINS3_IJiNS6_IiLi4EEEEEELb0EEENS_11PassThroughIiEEEEENS3_IJNS_8SequenceIJLi0EEEENSH_IJLi2EEEENSH_IJLi1EEEEEEENS3_IJNSH_IJLi1ELi2EEEENSH_IJLi3ELi4EEEENSH_IJLi5EEEEEEENSH_IJLi3ELi5ELi4EEEElEENS2_INS3_IJNS4_IS5_NS3_IJS7_iEEELb0EEESD_SF_EEENS3_IJSI_SK_SJ_EEESP_SQ_lEENS2_INS3_IJS9_SF_SF_EEESV_NS3_IJSM_NSH_IJLi3EEEENSH_IJLi4EEEEEEESN_lEENS_16tensor_operation12element_wise11PassThroughES14_S14_Li16ELi128ELi4ELi16ELi16ELi4ELi1ELi2ENSH_IJLi16ELi16ELi1EEEENSH_IJLi1ELi0ELi2EEEES16_Li2ELi4ELi4ELb0ELb1ELi4ELb0ELi4ENSH_IJLi0ELi2ELi4ELi5ELi6ELi1ELi3ELi7EEEELi7ELi1EE11K0PerThreadE@rel32@hi+12
	s_load_dword s24, s[0:1], 0x0
	s_getpc_b64 s[0:1]
	s_add_u32 s0, s0, _ZN2ck48GridwiseGemm_k0mk1_k0nk1_mn_xdlops_skip_b_lds_v1ILi256EfffLNS_25InMemoryDataOperationEnumE0ENS_16TensorDescriptorINS_5TupleIJNS_5EmbedINS3_IJiiEEENS3_IJiNS_17integral_constantIiLi1EEEEEELb0EEENS_7UnMergeINS3_IJiNS6_IiLi4EEEEEELb0EEENS_11PassThroughIiEEEEENS3_IJNS_8SequenceIJLi0EEEENSH_IJLi2EEEENSH_IJLi1EEEEEEENS3_IJNSH_IJLi1ELi2EEEENSH_IJLi3ELi4EEEENSH_IJLi5EEEEEEENSH_IJLi3ELi5ELi4EEEElEENS2_INS3_IJNS4_IS5_NS3_IJS7_iEEELb0EEESD_SF_EEENS3_IJSI_SK_SJ_EEESP_SQ_lEENS2_INS3_IJS9_SF_SF_EEESV_NS3_IJSM_NSH_IJLi3EEEENSH_IJLi4EEEEEEESN_lEENS_16tensor_operation12element_wise11PassThroughES14_S14_Li16ELi128ELi4ELi16ELi16ELi4ELi1ELi2ENSH_IJLi16ELi16ELi1EEEENSH_IJLi1ELi0ELi2EEEES16_Li2ELi4ELi4ELb0ELb1ELi4ELb0ELi4ENSH_IJLi0ELi2ELi4ELi5ELi6ELi1ELi3ELi7EEEELi7ELi1EE6NWavesE@rel32@lo+4
	s_addc_u32 s1, s1, _ZN2ck48GridwiseGemm_k0mk1_k0nk1_mn_xdlops_skip_b_lds_v1ILi256EfffLNS_25InMemoryDataOperationEnumE0ENS_16TensorDescriptorINS_5TupleIJNS_5EmbedINS3_IJiiEEENS3_IJiNS_17integral_constantIiLi1EEEEEELb0EEENS_7UnMergeINS3_IJiNS6_IiLi4EEEEEELb0EEENS_11PassThroughIiEEEEENS3_IJNS_8SequenceIJLi0EEEENSH_IJLi2EEEENSH_IJLi1EEEEEEENS3_IJNSH_IJLi1ELi2EEEENSH_IJLi3ELi4EEEENSH_IJLi5EEEEEEENSH_IJLi3ELi5ELi4EEEElEENS2_INS3_IJNS4_IS5_NS3_IJS7_iEEELb0EEESD_SF_EEENS3_IJSI_SK_SJ_EEESP_SQ_lEENS2_INS3_IJS9_SF_SF_EEESV_NS3_IJSM_NSH_IJLi3EEEENSH_IJLi4EEEEEEESN_lEENS_16tensor_operation12element_wise11PassThroughES14_S14_Li16ELi128ELi4ELi16ELi16ELi4ELi1ELi2ENSH_IJLi16ELi16ELi1EEEENSH_IJLi1ELi0ELi2EEEES16_Li2ELi4ELi4ELb0ELb1ELi4ELb0ELi4ENSH_IJLi0ELi2ELi4ELi5ELi6ELi1ELi3ELi7EEEELi7ELi1EE6NWavesE@rel32@hi+12
	s_load_dword s28, s[0:1], 0x0
	s_mul_i32 s20, s20, s18
	s_sub_i32 s0, s25, s20
	s_mul_i32 s3, s3, s17
	s_mul_i32 s13, s0, s21
	s_sub_i32 s0, s2, s3
	s_add_i32 s13, s13, s0
	v_lshrrev_b32_e32 v43, 2, v0
	s_waitcnt lgkmcnt(0)
	s_mul_i32 s0, s28, s13
	v_and_b32_e32 v39, 48, v43
	s_lshl_b32 s20, s0, 5
	v_or_b32_e32 v2, v39, v1
	v_and_b32_e32 v42, 12, v43
	v_add_u32_e32 v3, s20, v2
	v_mul_lo_u32 v2, v42, s24
	v_mad_u64_u32 v[2:3], s[0:1], v3, s23, v[2:3]
	s_mul_i32 s27, s24, s8
	s_and_b32 s1, s15, 0xffff
	s_mul_i32 s15, s28, s23
	s_lshl_b32 s15, s15, 4
	s_lshl_b32 s17, s27, 2
	;; [unrolled: 1-line block ×3, first 2 shown]
	s_mov_b32 s0, s14
	s_mov_b32 s3, s11
	v_lshlrev_b32_e32 v3, 2, v2
	v_add_lshl_u32 v4, v2, s15, 2
	v_add_u32_e32 v2, s17, v2
	buffer_load_dwordx4 v[10:13], v3, s[0:3], 0 offen
	buffer_load_dwordx4 v[6:9], v4, s[0:3], 0 offen
	v_lshlrev_b32_e32 v3, 2, v2
	v_add_lshl_u32 v4, v2, s15, 2
	v_add_u32_e32 v2, s17, v2
	buffer_load_dwordx4 v[26:29], v3, s[0:3], 0 offen
	buffer_load_dwordx4 v[14:17], v4, s[0:3], 0 offen
	v_lshlrev_b32_e32 v3, 2, v2
	v_add_lshl_u32 v4, v2, s15, 2
	v_add_u32_e32 v2, s17, v2
	v_lshlrev_b32_e32 v40, 2, v2
	buffer_load_dwordx4 v[30:33], v3, s[0:3], 0 offen
	buffer_load_dwordx4 v[22:25], v4, s[0:3], 0 offen
	v_add_lshl_u32 v41, v2, s15, 2
	buffer_load_dwordx4 v[18:21], v40, s[0:3], 0 offen
	buffer_load_dwordx4 v[2:5], v41, s[0:3], 0 offen
	s_getpc_b64 s[18:19]
	s_add_u32 s18, s18, _ZN2ck53BlockwiseGemmXdlops_k0mk1_k0nk1_m0n0m1n1m2m3m4n2_v1r1ILi256EffKNS_16TensorDescriptorINS_5TupleIJNS_5EmbedINS2_IJNS_17integral_constantIiLi4EEENS4_IiLi16EEES5_EEENS2_IJNS4_IiLi68EEES5_NS4_IiLi1EEEEEELb0EEEEEENS2_IJNS_8SequenceIJLi0EEEEEEENS2_IJNSD_IJLi1ELi2ELi3EEEEEEESG_NS4_IlLl268EEEEEKNS1_INS2_IJNS_7UnMergeINS2_IJS9_S9_S9_S9_NS4_IiLi2EEES9_S9_S5_EEELb0EEEEEESF_NS2_IJNSD_IJLi1ELi2ELi3ELi4ELi5ELi6ELi7ELi8EEEEEEESQ_NS4_IlLl8EEEEELi16ELi128ELi4ELi16ELi16ELi1ELi2ELi4EE6MWavesE@rel32@lo+4
	s_addc_u32 s19, s19, _ZN2ck53BlockwiseGemmXdlops_k0mk1_k0nk1_m0n0m1n1m2m3m4n2_v1r1ILi256EffKNS_16TensorDescriptorINS_5TupleIJNS_5EmbedINS2_IJNS_17integral_constantIiLi4EEENS4_IiLi16EEES5_EEENS2_IJNS4_IiLi68EEES5_NS4_IiLi1EEEEEELb0EEEEEENS2_IJNS_8SequenceIJLi0EEEEEEENS2_IJNSD_IJLi1ELi2ELi3EEEEEEESG_NS4_IlLl268EEEEEKNS1_INS2_IJNS_7UnMergeINS2_IJS9_S9_S9_S9_NS4_IiLi2EEES9_S9_S5_EEELb0EEEEEESF_NS2_IJNSD_IJLi1ELi2ELi3ELi4ELi5ELi6ELi7ELi8EEEEEEESQ_NS4_IlLl8EEEEELi16ELi128ELi4ELi16ELi16ELi1ELi2ELi4EE6MWavesE@rel32@hi+12
	s_load_dword s15, s[18:19], 0x0
	s_getpc_b64 s[18:19]
	s_add_u32 s18, s18, _ZN2ck53BlockwiseGemmXdlops_k0mk1_k0nk1_m0n0m1n1m2m3m4n2_v1r1ILi256EffKNS_16TensorDescriptorINS_5TupleIJNS_5EmbedINS2_IJNS_17integral_constantIiLi4EEENS4_IiLi16EEES5_EEENS2_IJNS4_IiLi68EEES5_NS4_IiLi1EEEEEELb0EEEEEENS2_IJNS_8SequenceIJLi0EEEEEEENS2_IJNSD_IJLi1ELi2ELi3EEEEEEESG_NS4_IlLl268EEEEEKNS1_INS2_IJNS_7UnMergeINS2_IJS9_S9_S9_S9_NS4_IiLi2EEES9_S9_S5_EEELb0EEEEEESF_NS2_IJNSD_IJLi1ELi2ELi3ELi4ELi5ELi6ELi7ELi8EEEEEEESQ_NS4_IlLl8EEEEELi16ELi128ELi4ELi16ELi16ELi1ELi2ELi4EE6NWavesE@rel32@lo+4
	s_addc_u32 s19, s19, _ZN2ck53BlockwiseGemmXdlops_k0mk1_k0nk1_m0n0m1n1m2m3m4n2_v1r1ILi256EffKNS_16TensorDescriptorINS_5TupleIJNS_5EmbedINS2_IJNS_17integral_constantIiLi4EEENS4_IiLi16EEES5_EEENS2_IJNS4_IiLi68EEES5_NS4_IiLi1EEEEEELb0EEEEEENS2_IJNS_8SequenceIJLi0EEEEEEENS2_IJNSD_IJLi1ELi2ELi3EEEEEEESG_NS4_IlLl268EEEEEKNS1_INS2_IJNS_7UnMergeINS2_IJS9_S9_S9_S9_NS4_IiLi2EEES9_S9_S5_EEELb0EEEEEESF_NS2_IJNSD_IJLi1ELi2ELi3ELi4ELi5ELi6ELi7ELi8EEEEEEESQ_NS4_IlLl8EEEEELi16ELi128ELi4ELi16ELi16ELi1ELi2ELi4EE6NWavesE@rel32@hi+12
	v_bfe_u32 v40, v0, 4, 2
	s_movk_i32 s0, 0x110
	v_and_b32_e32 v0, 0xf0, v0
	v_mad_u32_u24 v44, v1, s0, v0
	s_ashr_i32 s0, s22, 31
	s_lshr_b32 s0, s0, 28
	s_add_i32 s22, s22, s0
	s_ashr_i32 s0, s22, 4
	s_max_i32 s22, s0, 2
	s_lshl_b32 s0, s13, 5
	s_or_b32 s0, s0, 16
	s_mul_i32 s28, s28, s0
	s_mov_b32 s21, s1
	s_load_dword s17, s[18:19], 0x0
	v_mul_u32_u24_e32 v41, 0x110, v1
	s_mov_b32 s18, 0
	s_lshl_b32 s19, s27, 6
	v_add_u32_e32 v52, 0x100, v38
	v_add_u32_e32 v53, v41, v0
	s_waitcnt vmcnt(8)
	ds_write_b128 v44, v[34:37]
	v_add_u32_e32 v34, s20, v39
	v_or_b32_e32 v34, v34, v1
	v_mul_lo_u32 v34, s23, v34
	v_add_u32_e32 v35, s28, v39
	v_mul_u32_u24_e32 v37, 0x110, v40
	v_lshlrev_b32_e32 v40, 2, v34
	v_lshl_or_b32 v34, s8, 4, v42
	v_or_b32_e32 v35, v35, v1
	v_mul_lo_u32 v34, s24, v34
	v_mul_lo_u32 v35, s23, v35
	v_lshlrev_b32_e32 v34, 2, v34
	v_lshlrev_b32_e32 v39, 2, v35
	v_add_u32_e32 v44, v40, v34
	v_add_u32_e32 v45, v39, v34
	v_mad_u64_u32 v[34:35], s[0:1], s8, 24, v[42:43]
	v_mul_lo_u32 v34, s24, v34
	v_lshlrev_b32_e32 v34, 2, v34
	v_add_u32_e32 v46, v40, v34
	v_add_u32_e32 v47, v39, v34
	v_mad_u64_u32 v[34:35], s[0:1], s8, 28, v[42:43]
	v_mul_lo_u32 v34, s24, v34
	v_lshlrev_b32_e32 v34, 2, v34
	v_add_u32_e32 v48, v40, v34
	v_add_u32_e32 v49, v39, v34
	v_mad_u64_u32 v[34:35], s[0:1], s8, 20, v[42:43]
	v_mul_lo_u32 v34, s24, v34
	v_lshlrev_b32_e32 v34, 2, v34
	v_lshlrev_b32_e32 v36, 4, v1
	v_add_u32_e32 v50, v39, v34
	v_add_u32_e32 v51, v40, v34
	v_mov_b32_e32 v34, 0
	s_add_i32 s20, s22, -1
	s_mov_b32 s8, s12
	v_add_u32_e32 v0, v36, v37
	s_mov_b32 s0, s14
	s_mov_b32 s1, s21
	v_mov_b32_e32 v35, v34
	v_mov_b32_e32 v36, v34
	;; [unrolled: 1-line block ×7, first 2 shown]
.LBB1_1:                                ; =>This Inner Loop Header: Depth=1
	buffer_load_dwordx4 v[54:57], v52, s[8:11], 0 offen
	s_waitcnt lgkmcnt(0)
	s_barrier
	ds_read_b128 v[58:61], v0
	;;#ASMSTART
	    s_nop 0 
     
	;;#ASMEND
	v_add_u32_e32 v62, s18, v48
	v_add_u32_e32 v63, s18, v49
	s_add_i32 s20, s20, -1
	v_add_u32_e32 v52, 0x100, v52
	s_waitcnt vmcnt(7) lgkmcnt(0)
	v_mfma_f32_16x16x4_f32 v[34:37], v58, v6, v[34:37]
	v_mfma_f32_16x16x4_f32 v[38:41], v58, v10, v[38:41]
	;; [unrolled: 1-line block ×7, first 2 shown]
	s_nop 7
	ds_read_b128 v[34:37], v0 offset:1088
	v_mfma_f32_16x16x4_f32 v[10:13], v61, v13, v[38:41]
	s_waitcnt vmcnt(6) lgkmcnt(0)
	v_mfma_f32_16x16x4_f32 v[10:13], v34, v26, v[10:13]
	s_waitcnt vmcnt(5)
	v_mfma_f32_16x16x4_f32 v[6:9], v34, v14, v[6:9]
	v_add_u32_e32 v14, s18, v44
	v_mfma_f32_16x16x4_f32 v[10:13], v35, v27, v[10:13]
	v_mfma_f32_16x16x4_f32 v[6:9], v35, v15, v[6:9]
	v_add_u32_e32 v15, s18, v45
	v_mfma_f32_16x16x4_f32 v[10:13], v36, v28, v[10:13]
	v_mfma_f32_16x16x4_f32 v[38:41], v36, v16, v[6:9]
	;; [unrolled: 1-line block ×3, first 2 shown]
	s_nop 7
	buffer_load_dwordx4 v[10:13], v14, s[0:3], 0 offen
	buffer_load_dwordx4 v[6:9], v15, s[0:3], 0 offen
	;;#ASMSTART
	    s_nop 0 
     
	;;#ASMEND
	v_mfma_f32_16x16x4_f32 v[14:17], v37, v17, v[38:41]
	ds_read_b128 v[34:37], v0 offset:2176
	s_waitcnt vmcnt(6) lgkmcnt(0)
	v_mfma_f32_16x16x4_f32 v[26:29], v34, v30, v[26:29]
	s_waitcnt vmcnt(5)
	v_mfma_f32_16x16x4_f32 v[14:17], v34, v22, v[14:17]
	v_add_u32_e32 v22, s18, v51
	v_mfma_f32_16x16x4_f32 v[26:29], v35, v31, v[26:29]
	v_mfma_f32_16x16x4_f32 v[14:17], v35, v23, v[14:17]
	v_add_u32_e32 v23, s18, v50
	v_mfma_f32_16x16x4_f32 v[26:29], v36, v32, v[26:29]
	v_mfma_f32_16x16x4_f32 v[38:41], v36, v24, v[14:17]
	;; [unrolled: 1-line block ×3, first 2 shown]
	s_nop 7
	buffer_load_dwordx4 v[26:29], v22, s[0:3], 0 offen
	buffer_load_dwordx4 v[14:17], v23, s[0:3], 0 offen
	;;#ASMSTART
	    s_nop 0 
     
	;;#ASMEND
	v_mfma_f32_16x16x4_f32 v[22:25], v37, v25, v[38:41]
	ds_read_b128 v[34:37], v0 offset:3264
	s_waitcnt vmcnt(6) lgkmcnt(0)
	v_mfma_f32_16x16x4_f32 v[30:33], v34, v18, v[30:33]
	s_waitcnt vmcnt(5)
	v_mfma_f32_16x16x4_f32 v[22:25], v34, v2, v[22:25]
	v_add_u32_e32 v2, s18, v46
	v_mfma_f32_16x16x4_f32 v[30:33], v35, v19, v[30:33]
	v_mfma_f32_16x16x4_f32 v[22:25], v35, v3, v[22:25]
	v_add_u32_e32 v3, s18, v47
	s_add_i32 s18, s18, s19
	s_cmp_lg_u32 s20, 0
	v_mfma_f32_16x16x4_f32 v[30:33], v36, v20, v[30:33]
	v_mfma_f32_16x16x4_f32 v[58:61], v36, v4, v[22:25]
	;; [unrolled: 1-line block ×3, first 2 shown]
	s_nop 7
	buffer_load_dwordx4 v[30:33], v2, s[0:3], 0 offen
	buffer_load_dwordx4 v[22:25], v3, s[0:3], 0 offen
	;;#ASMSTART
	    s_nop 0 
     
	;;#ASMEND
	v_mfma_f32_16x16x4_f32 v[34:37], v37, v5, v[58:61]
	buffer_load_dwordx4 v[18:21], v62, s[0:3], 0 offen
	buffer_load_dwordx4 v[2:5], v63, s[0:3], 0 offen
	s_waitcnt lgkmcnt(0)
	s_barrier
	s_waitcnt vmcnt(8)
	ds_write_b128 v53, v[54:57]
	s_cbranch_scc1 .LBB1_1
; %bb.2:
	s_waitcnt lgkmcnt(0)
	s_barrier
	ds_read_b128 v[44:47], v0
	ds_read_b128 v[48:51], v0 offset:1088
	s_lshl_b32 s1, s13, 1
	s_waitcnt vmcnt(7) lgkmcnt(1)
	v_mfma_f32_16x16x4_f32 v[38:41], v44, v10, v[38:41]
	s_mul_i32 s15, s15, s7
	s_lshl_b32 s0, s17, 4
	s_and_b32 s1, s1, 0x3fffffe
	s_mul_i32 s1, s1, s0
	v_and_or_b32 v1, v43, 48, v1
	s_lshl_b32 s6, s6, 2
	s_and_b32 s5, s5, 0xffff
	s_waitcnt vmcnt(6)
	v_mfma_f32_16x16x4_f32 v[34:37], v44, v6, v[34:37]
	s_mov_b32 s7, 0x20000
	v_mfma_f32_16x16x4_f32 v[38:41], v45, v11, v[38:41]
	v_mfma_f32_16x16x4_f32 v[34:37], v45, v7, v[34:37]
	;; [unrolled: 1-line block ×6, first 2 shown]
	s_waitcnt vmcnt(5) lgkmcnt(0)
	v_mfma_f32_16x16x4_f32 v[10:13], v48, v26, v[10:13]
	s_waitcnt vmcnt(4)
	v_mfma_f32_16x16x4_f32 v[6:9], v48, v14, v[6:9]
	v_mfma_f32_16x16x4_f32 v[10:13], v49, v27, v[10:13]
	;; [unrolled: 1-line block ×7, first 2 shown]
	ds_read_b128 v[14:17], v0 offset:2176
	ds_read_b128 v[26:29], v0 offset:3264
	v_lshl_or_b32 v0, s15, 4, v42
	v_mul_lo_u32 v0, v0, s16
	s_waitcnt vmcnt(3) lgkmcnt(1)
	v_mfma_f32_16x16x4_f32 v[10:13], v14, v30, v[10:13]
	s_waitcnt vmcnt(2)
	v_mfma_f32_16x16x4_f32 v[6:9], v14, v22, v[6:9]
	v_add3_u32 v14, v1, s1, v0
	v_mfma_f32_16x16x4_f32 v[10:13], v15, v31, v[10:13]
	v_mfma_f32_16x16x4_f32 v[6:9], v15, v23, v[6:9]
	;; [unrolled: 1-line block ×6, first 2 shown]
	s_waitcnt vmcnt(1) lgkmcnt(0)
	v_mfma_f32_16x16x4_f32 v[10:13], v26, v18, v[10:13]
	s_waitcnt vmcnt(0)
	v_mfma_f32_16x16x4_f32 v[6:9], v26, v2, v[6:9]
	v_mfma_f32_16x16x4_f32 v[10:13], v27, v19, v[10:13]
	;; [unrolled: 1-line block ×5, first 2 shown]
	v_lshlrev_b32_e32 v4, 2, v14
	v_mfma_f32_16x16x4_f32 v[10:13], v29, v21, v[10:13]
	v_mfma_f32_16x16x4_f32 v[0:3], v29, v5, v[0:3]
	s_nop 8
	buffer_store_dword v10, v4, s[4:7], 0 offen
	v_add_u32_e32 v4, s0, v14
	v_lshlrev_b32_e32 v6, 2, v4
	buffer_store_dword v0, v6, s[4:7], 0 offen
	v_add_u32_e32 v0, s16, v4
	v_lshlrev_b32_e32 v4, 2, v0
	;; [unrolled: 3-line block ×3, first 2 shown]
	v_add_lshl_u32 v1, v1, s16, 2
	v_add_u32_e32 v0, s16, v0
	buffer_store_dword v11, v4, s[4:7], 0 offen
	buffer_store_dword v12, v1, s[4:7], 0 offen
	v_lshlrev_b32_e32 v1, 2, v0
	v_add_u32_e32 v0, s16, v0
	buffer_store_dword v2, v1, s[4:7], 0 offen
	v_lshlrev_b32_e32 v1, 2, v0
	v_subrev_u32_e32 v0, s0, v0
	v_lshlrev_b32_e32 v0, 2, v0
	buffer_store_dword v3, v1, s[4:7], 0 offen
	buffer_store_dword v13, v0, s[4:7], 0 offen
	s_endpgm
	.section	.rodata,"a",@progbits
	.p2align	6, 0x0
	.amdhsa_kernel _ZN2ck32kernel_gemm_xdlops_skip_b_lds_v1INS_48GridwiseGemm_k0mk1_k0nk1_mn_xdlops_skip_b_lds_v1ILi256EfffLNS_25InMemoryDataOperationEnumE0ENS_16TensorDescriptorINS_5TupleIJNS_5EmbedINS4_IJiiEEENS4_IJiNS_17integral_constantIiLi1EEEEEELb0EEENS_7UnMergeINS4_IJiNS7_IiLi4EEEEEELb0EEENS_11PassThroughIiEEEEENS4_IJNS_8SequenceIJLi0EEEENSI_IJLi2EEEENSI_IJLi1EEEEEEENS4_IJNSI_IJLi1ELi2EEEENSI_IJLi3ELi4EEEENSI_IJLi5EEEEEEENSI_IJLi3ELi5ELi4EEEElEENS3_INS4_IJNS5_IS6_NS4_IJS8_iEEELb0EEESE_SG_EEENS4_IJSJ_SL_SK_EEESQ_SR_lEENS3_INS4_IJSA_SG_SG_EEESW_NS4_IJSN_NSI_IJLi3EEEENSI_IJLi4EEEEEEESO_lEENS_16tensor_operation12element_wise11PassThroughES15_S15_Li16ELi128ELi4ELi16ELi16ELi4ELi1ELi2ENSI_IJLi16ELi16ELi1EEEENSI_IJLi1ELi0ELi2EEEES17_Li2ELi4ELi4ELb0ELb1ELi4ELb0ELi4ENSI_IJLi0ELi2ELi4ELi5ELi6ELi1ELi3ELi7EEEELi7ELi1EEEffSS_SX_S12_S15_S15_S15_NS_13TensorAdaptorINS4_IJNSB_IS6_Lb0EEES1B_NS_23Merge_v2_magic_divisionINS4_IJiiiiEEEEEEEENS4_IJSJ_SL_NSI_IJLi2ELi3ELi4ELi5EEEEEEENS4_IJNSI_IJLi2ELi4EEEENSI_IJLi3ELi5EEEENSI_IJLi6EEEEEEENSI_IJLi0ELi1EEEES1K_EELb1EEEvPKT0_S1Q_PT1_T2_T3_T4_T5_T6_T7_T8_
		.amdhsa_group_segment_fixed_size 1072
		.amdhsa_private_segment_fixed_size 0
		.amdhsa_kernarg_size 252
		.amdhsa_user_sgpr_count 2
		.amdhsa_user_sgpr_dispatch_ptr 0
		.amdhsa_user_sgpr_queue_ptr 0
		.amdhsa_user_sgpr_kernarg_segment_ptr 1
		.amdhsa_user_sgpr_dispatch_id 0
		.amdhsa_user_sgpr_kernarg_preload_length 0
		.amdhsa_user_sgpr_kernarg_preload_offset 0
		.amdhsa_user_sgpr_private_segment_size 0
		.amdhsa_uses_dynamic_stack 0
		.amdhsa_enable_private_segment 0
		.amdhsa_system_sgpr_workgroup_id_x 1
		.amdhsa_system_sgpr_workgroup_id_y 0
		.amdhsa_system_sgpr_workgroup_id_z 0
		.amdhsa_system_sgpr_workgroup_info 0
		.amdhsa_system_vgpr_workitem_id 0
		.amdhsa_next_free_vgpr 64
		.amdhsa_next_free_sgpr 29
		.amdhsa_accum_offset 64
		.amdhsa_reserve_vcc 0
		.amdhsa_float_round_mode_32 0
		.amdhsa_float_round_mode_16_64 0
		.amdhsa_float_denorm_mode_32 3
		.amdhsa_float_denorm_mode_16_64 3
		.amdhsa_dx10_clamp 1
		.amdhsa_ieee_mode 1
		.amdhsa_fp16_overflow 0
		.amdhsa_tg_split 0
		.amdhsa_exception_fp_ieee_invalid_op 0
		.amdhsa_exception_fp_denorm_src 0
		.amdhsa_exception_fp_ieee_div_zero 0
		.amdhsa_exception_fp_ieee_overflow 0
		.amdhsa_exception_fp_ieee_underflow 0
		.amdhsa_exception_fp_ieee_inexact 0
		.amdhsa_exception_int_div_zero 0
	.end_amdhsa_kernel
	.section	.text._ZN2ck32kernel_gemm_xdlops_skip_b_lds_v1INS_48GridwiseGemm_k0mk1_k0nk1_mn_xdlops_skip_b_lds_v1ILi256EfffLNS_25InMemoryDataOperationEnumE0ENS_16TensorDescriptorINS_5TupleIJNS_5EmbedINS4_IJiiEEENS4_IJiNS_17integral_constantIiLi1EEEEEELb0EEENS_7UnMergeINS4_IJiNS7_IiLi4EEEEEELb0EEENS_11PassThroughIiEEEEENS4_IJNS_8SequenceIJLi0EEEENSI_IJLi2EEEENSI_IJLi1EEEEEEENS4_IJNSI_IJLi1ELi2EEEENSI_IJLi3ELi4EEEENSI_IJLi5EEEEEEENSI_IJLi3ELi5ELi4EEEElEENS3_INS4_IJNS5_IS6_NS4_IJS8_iEEELb0EEESE_SG_EEENS4_IJSJ_SL_SK_EEESQ_SR_lEENS3_INS4_IJSA_SG_SG_EEESW_NS4_IJSN_NSI_IJLi3EEEENSI_IJLi4EEEEEEESO_lEENS_16tensor_operation12element_wise11PassThroughES15_S15_Li16ELi128ELi4ELi16ELi16ELi4ELi1ELi2ENSI_IJLi16ELi16ELi1EEEENSI_IJLi1ELi0ELi2EEEES17_Li2ELi4ELi4ELb0ELb1ELi4ELb0ELi4ENSI_IJLi0ELi2ELi4ELi5ELi6ELi1ELi3ELi7EEEELi7ELi1EEEffSS_SX_S12_S15_S15_S15_NS_13TensorAdaptorINS4_IJNSB_IS6_Lb0EEES1B_NS_23Merge_v2_magic_divisionINS4_IJiiiiEEEEEEEENS4_IJSJ_SL_NSI_IJLi2ELi3ELi4ELi5EEEEEEENS4_IJNSI_IJLi2ELi4EEEENSI_IJLi3ELi5EEEENSI_IJLi6EEEEEEENSI_IJLi0ELi1EEEES1K_EELb1EEEvPKT0_S1Q_PT1_T2_T3_T4_T5_T6_T7_T8_,"axG",@progbits,_ZN2ck32kernel_gemm_xdlops_skip_b_lds_v1INS_48GridwiseGemm_k0mk1_k0nk1_mn_xdlops_skip_b_lds_v1ILi256EfffLNS_25InMemoryDataOperationEnumE0ENS_16TensorDescriptorINS_5TupleIJNS_5EmbedINS4_IJiiEEENS4_IJiNS_17integral_constantIiLi1EEEEEELb0EEENS_7UnMergeINS4_IJiNS7_IiLi4EEEEEELb0EEENS_11PassThroughIiEEEEENS4_IJNS_8SequenceIJLi0EEEENSI_IJLi2EEEENSI_IJLi1EEEEEEENS4_IJNSI_IJLi1ELi2EEEENSI_IJLi3ELi4EEEENSI_IJLi5EEEEEEENSI_IJLi3ELi5ELi4EEEElEENS3_INS4_IJNS5_IS6_NS4_IJS8_iEEELb0EEESE_SG_EEENS4_IJSJ_SL_SK_EEESQ_SR_lEENS3_INS4_IJSA_SG_SG_EEESW_NS4_IJSN_NSI_IJLi3EEEENSI_IJLi4EEEEEEESO_lEENS_16tensor_operation12element_wise11PassThroughES15_S15_Li16ELi128ELi4ELi16ELi16ELi4ELi1ELi2ENSI_IJLi16ELi16ELi1EEEENSI_IJLi1ELi0ELi2EEEES17_Li2ELi4ELi4ELb0ELb1ELi4ELb0ELi4ENSI_IJLi0ELi2ELi4ELi5ELi6ELi1ELi3ELi7EEEELi7ELi1EEEffSS_SX_S12_S15_S15_S15_NS_13TensorAdaptorINS4_IJNSB_IS6_Lb0EEES1B_NS_23Merge_v2_magic_divisionINS4_IJiiiiEEEEEEEENS4_IJSJ_SL_NSI_IJLi2ELi3ELi4ELi5EEEEEEENS4_IJNSI_IJLi2ELi4EEEENSI_IJLi3ELi5EEEENSI_IJLi6EEEEEEENSI_IJLi0ELi1EEEES1K_EELb1EEEvPKT0_S1Q_PT1_T2_T3_T4_T5_T6_T7_T8_,comdat
.Lfunc_end1:
	.size	_ZN2ck32kernel_gemm_xdlops_skip_b_lds_v1INS_48GridwiseGemm_k0mk1_k0nk1_mn_xdlops_skip_b_lds_v1ILi256EfffLNS_25InMemoryDataOperationEnumE0ENS_16TensorDescriptorINS_5TupleIJNS_5EmbedINS4_IJiiEEENS4_IJiNS_17integral_constantIiLi1EEEEEELb0EEENS_7UnMergeINS4_IJiNS7_IiLi4EEEEEELb0EEENS_11PassThroughIiEEEEENS4_IJNS_8SequenceIJLi0EEEENSI_IJLi2EEEENSI_IJLi1EEEEEEENS4_IJNSI_IJLi1ELi2EEEENSI_IJLi3ELi4EEEENSI_IJLi5EEEEEEENSI_IJLi3ELi5ELi4EEEElEENS3_INS4_IJNS5_IS6_NS4_IJS8_iEEELb0EEESE_SG_EEENS4_IJSJ_SL_SK_EEESQ_SR_lEENS3_INS4_IJSA_SG_SG_EEESW_NS4_IJSN_NSI_IJLi3EEEENSI_IJLi4EEEEEEESO_lEENS_16tensor_operation12element_wise11PassThroughES15_S15_Li16ELi128ELi4ELi16ELi16ELi4ELi1ELi2ENSI_IJLi16ELi16ELi1EEEENSI_IJLi1ELi0ELi2EEEES17_Li2ELi4ELi4ELb0ELb1ELi4ELb0ELi4ENSI_IJLi0ELi2ELi4ELi5ELi6ELi1ELi3ELi7EEEELi7ELi1EEEffSS_SX_S12_S15_S15_S15_NS_13TensorAdaptorINS4_IJNSB_IS6_Lb0EEES1B_NS_23Merge_v2_magic_divisionINS4_IJiiiiEEEEEEEENS4_IJSJ_SL_NSI_IJLi2ELi3ELi4ELi5EEEEEEENS4_IJNSI_IJLi2ELi4EEEENSI_IJLi3ELi5EEEENSI_IJLi6EEEEEEENSI_IJLi0ELi1EEEES1K_EELb1EEEvPKT0_S1Q_PT1_T2_T3_T4_T5_T6_T7_T8_, .Lfunc_end1-_ZN2ck32kernel_gemm_xdlops_skip_b_lds_v1INS_48GridwiseGemm_k0mk1_k0nk1_mn_xdlops_skip_b_lds_v1ILi256EfffLNS_25InMemoryDataOperationEnumE0ENS_16TensorDescriptorINS_5TupleIJNS_5EmbedINS4_IJiiEEENS4_IJiNS_17integral_constantIiLi1EEEEEELb0EEENS_7UnMergeINS4_IJiNS7_IiLi4EEEEEELb0EEENS_11PassThroughIiEEEEENS4_IJNS_8SequenceIJLi0EEEENSI_IJLi2EEEENSI_IJLi1EEEEEEENS4_IJNSI_IJLi1ELi2EEEENSI_IJLi3ELi4EEEENSI_IJLi5EEEEEEENSI_IJLi3ELi5ELi4EEEElEENS3_INS4_IJNS5_IS6_NS4_IJS8_iEEELb0EEESE_SG_EEENS4_IJSJ_SL_SK_EEESQ_SR_lEENS3_INS4_IJSA_SG_SG_EEESW_NS4_IJSN_NSI_IJLi3EEEENSI_IJLi4EEEEEEESO_lEENS_16tensor_operation12element_wise11PassThroughES15_S15_Li16ELi128ELi4ELi16ELi16ELi4ELi1ELi2ENSI_IJLi16ELi16ELi1EEEENSI_IJLi1ELi0ELi2EEEES17_Li2ELi4ELi4ELb0ELb1ELi4ELb0ELi4ENSI_IJLi0ELi2ELi4ELi5ELi6ELi1ELi3ELi7EEEELi7ELi1EEEffSS_SX_S12_S15_S15_S15_NS_13TensorAdaptorINS4_IJNSB_IS6_Lb0EEES1B_NS_23Merge_v2_magic_divisionINS4_IJiiiiEEEEEEEENS4_IJSJ_SL_NSI_IJLi2ELi3ELi4ELi5EEEEEEENS4_IJNSI_IJLi2ELi4EEEENSI_IJLi3ELi5EEEENSI_IJLi6EEEEEEENSI_IJLi0ELi1EEEES1K_EELb1EEEvPKT0_S1Q_PT1_T2_T3_T4_T5_T6_T7_T8_
                                        ; -- End function
	.set _ZN2ck32kernel_gemm_xdlops_skip_b_lds_v1INS_48GridwiseGemm_k0mk1_k0nk1_mn_xdlops_skip_b_lds_v1ILi256EfffLNS_25InMemoryDataOperationEnumE0ENS_16TensorDescriptorINS_5TupleIJNS_5EmbedINS4_IJiiEEENS4_IJiNS_17integral_constantIiLi1EEEEEELb0EEENS_7UnMergeINS4_IJiNS7_IiLi4EEEEEELb0EEENS_11PassThroughIiEEEEENS4_IJNS_8SequenceIJLi0EEEENSI_IJLi2EEEENSI_IJLi1EEEEEEENS4_IJNSI_IJLi1ELi2EEEENSI_IJLi3ELi4EEEENSI_IJLi5EEEEEEENSI_IJLi3ELi5ELi4EEEElEENS3_INS4_IJNS5_IS6_NS4_IJS8_iEEELb0EEESE_SG_EEENS4_IJSJ_SL_SK_EEESQ_SR_lEENS3_INS4_IJSA_SG_SG_EEESW_NS4_IJSN_NSI_IJLi3EEEENSI_IJLi4EEEEEEESO_lEENS_16tensor_operation12element_wise11PassThroughES15_S15_Li16ELi128ELi4ELi16ELi16ELi4ELi1ELi2ENSI_IJLi16ELi16ELi1EEEENSI_IJLi1ELi0ELi2EEEES17_Li2ELi4ELi4ELb0ELb1ELi4ELb0ELi4ENSI_IJLi0ELi2ELi4ELi5ELi6ELi1ELi3ELi7EEEELi7ELi1EEEffSS_SX_S12_S15_S15_S15_NS_13TensorAdaptorINS4_IJNSB_IS6_Lb0EEES1B_NS_23Merge_v2_magic_divisionINS4_IJiiiiEEEEEEEENS4_IJSJ_SL_NSI_IJLi2ELi3ELi4ELi5EEEEEEENS4_IJNSI_IJLi2ELi4EEEENSI_IJLi3ELi5EEEENSI_IJLi6EEEEEEENSI_IJLi0ELi1EEEES1K_EELb1EEEvPKT0_S1Q_PT1_T2_T3_T4_T5_T6_T7_T8_.num_vgpr, 64
	.set _ZN2ck32kernel_gemm_xdlops_skip_b_lds_v1INS_48GridwiseGemm_k0mk1_k0nk1_mn_xdlops_skip_b_lds_v1ILi256EfffLNS_25InMemoryDataOperationEnumE0ENS_16TensorDescriptorINS_5TupleIJNS_5EmbedINS4_IJiiEEENS4_IJiNS_17integral_constantIiLi1EEEEEELb0EEENS_7UnMergeINS4_IJiNS7_IiLi4EEEEEELb0EEENS_11PassThroughIiEEEEENS4_IJNS_8SequenceIJLi0EEEENSI_IJLi2EEEENSI_IJLi1EEEEEEENS4_IJNSI_IJLi1ELi2EEEENSI_IJLi3ELi4EEEENSI_IJLi5EEEEEEENSI_IJLi3ELi5ELi4EEEElEENS3_INS4_IJNS5_IS6_NS4_IJS8_iEEELb0EEESE_SG_EEENS4_IJSJ_SL_SK_EEESQ_SR_lEENS3_INS4_IJSA_SG_SG_EEESW_NS4_IJSN_NSI_IJLi3EEEENSI_IJLi4EEEEEEESO_lEENS_16tensor_operation12element_wise11PassThroughES15_S15_Li16ELi128ELi4ELi16ELi16ELi4ELi1ELi2ENSI_IJLi16ELi16ELi1EEEENSI_IJLi1ELi0ELi2EEEES17_Li2ELi4ELi4ELb0ELb1ELi4ELb0ELi4ENSI_IJLi0ELi2ELi4ELi5ELi6ELi1ELi3ELi7EEEELi7ELi1EEEffSS_SX_S12_S15_S15_S15_NS_13TensorAdaptorINS4_IJNSB_IS6_Lb0EEES1B_NS_23Merge_v2_magic_divisionINS4_IJiiiiEEEEEEEENS4_IJSJ_SL_NSI_IJLi2ELi3ELi4ELi5EEEEEEENS4_IJNSI_IJLi2ELi4EEEENSI_IJLi3ELi5EEEENSI_IJLi6EEEEEEENSI_IJLi0ELi1EEEES1K_EELb1EEEvPKT0_S1Q_PT1_T2_T3_T4_T5_T6_T7_T8_.num_agpr, 0
	.set _ZN2ck32kernel_gemm_xdlops_skip_b_lds_v1INS_48GridwiseGemm_k0mk1_k0nk1_mn_xdlops_skip_b_lds_v1ILi256EfffLNS_25InMemoryDataOperationEnumE0ENS_16TensorDescriptorINS_5TupleIJNS_5EmbedINS4_IJiiEEENS4_IJiNS_17integral_constantIiLi1EEEEEELb0EEENS_7UnMergeINS4_IJiNS7_IiLi4EEEEEELb0EEENS_11PassThroughIiEEEEENS4_IJNS_8SequenceIJLi0EEEENSI_IJLi2EEEENSI_IJLi1EEEEEEENS4_IJNSI_IJLi1ELi2EEEENSI_IJLi3ELi4EEEENSI_IJLi5EEEEEEENSI_IJLi3ELi5ELi4EEEElEENS3_INS4_IJNS5_IS6_NS4_IJS8_iEEELb0EEESE_SG_EEENS4_IJSJ_SL_SK_EEESQ_SR_lEENS3_INS4_IJSA_SG_SG_EEESW_NS4_IJSN_NSI_IJLi3EEEENSI_IJLi4EEEEEEESO_lEENS_16tensor_operation12element_wise11PassThroughES15_S15_Li16ELi128ELi4ELi16ELi16ELi4ELi1ELi2ENSI_IJLi16ELi16ELi1EEEENSI_IJLi1ELi0ELi2EEEES17_Li2ELi4ELi4ELb0ELb1ELi4ELb0ELi4ENSI_IJLi0ELi2ELi4ELi5ELi6ELi1ELi3ELi7EEEELi7ELi1EEEffSS_SX_S12_S15_S15_S15_NS_13TensorAdaptorINS4_IJNSB_IS6_Lb0EEES1B_NS_23Merge_v2_magic_divisionINS4_IJiiiiEEEEEEEENS4_IJSJ_SL_NSI_IJLi2ELi3ELi4ELi5EEEEEEENS4_IJNSI_IJLi2ELi4EEEENSI_IJLi3ELi5EEEENSI_IJLi6EEEEEEENSI_IJLi0ELi1EEEES1K_EELb1EEEvPKT0_S1Q_PT1_T2_T3_T4_T5_T6_T7_T8_.numbered_sgpr, 29
	.set _ZN2ck32kernel_gemm_xdlops_skip_b_lds_v1INS_48GridwiseGemm_k0mk1_k0nk1_mn_xdlops_skip_b_lds_v1ILi256EfffLNS_25InMemoryDataOperationEnumE0ENS_16TensorDescriptorINS_5TupleIJNS_5EmbedINS4_IJiiEEENS4_IJiNS_17integral_constantIiLi1EEEEEELb0EEENS_7UnMergeINS4_IJiNS7_IiLi4EEEEEELb0EEENS_11PassThroughIiEEEEENS4_IJNS_8SequenceIJLi0EEEENSI_IJLi2EEEENSI_IJLi1EEEEEEENS4_IJNSI_IJLi1ELi2EEEENSI_IJLi3ELi4EEEENSI_IJLi5EEEEEEENSI_IJLi3ELi5ELi4EEEElEENS3_INS4_IJNS5_IS6_NS4_IJS8_iEEELb0EEESE_SG_EEENS4_IJSJ_SL_SK_EEESQ_SR_lEENS3_INS4_IJSA_SG_SG_EEESW_NS4_IJSN_NSI_IJLi3EEEENSI_IJLi4EEEEEEESO_lEENS_16tensor_operation12element_wise11PassThroughES15_S15_Li16ELi128ELi4ELi16ELi16ELi4ELi1ELi2ENSI_IJLi16ELi16ELi1EEEENSI_IJLi1ELi0ELi2EEEES17_Li2ELi4ELi4ELb0ELb1ELi4ELb0ELi4ENSI_IJLi0ELi2ELi4ELi5ELi6ELi1ELi3ELi7EEEELi7ELi1EEEffSS_SX_S12_S15_S15_S15_NS_13TensorAdaptorINS4_IJNSB_IS6_Lb0EEES1B_NS_23Merge_v2_magic_divisionINS4_IJiiiiEEEEEEEENS4_IJSJ_SL_NSI_IJLi2ELi3ELi4ELi5EEEEEEENS4_IJNSI_IJLi2ELi4EEEENSI_IJLi3ELi5EEEENSI_IJLi6EEEEEEENSI_IJLi0ELi1EEEES1K_EELb1EEEvPKT0_S1Q_PT1_T2_T3_T4_T5_T6_T7_T8_.num_named_barrier, 0
	.set _ZN2ck32kernel_gemm_xdlops_skip_b_lds_v1INS_48GridwiseGemm_k0mk1_k0nk1_mn_xdlops_skip_b_lds_v1ILi256EfffLNS_25InMemoryDataOperationEnumE0ENS_16TensorDescriptorINS_5TupleIJNS_5EmbedINS4_IJiiEEENS4_IJiNS_17integral_constantIiLi1EEEEEELb0EEENS_7UnMergeINS4_IJiNS7_IiLi4EEEEEELb0EEENS_11PassThroughIiEEEEENS4_IJNS_8SequenceIJLi0EEEENSI_IJLi2EEEENSI_IJLi1EEEEEEENS4_IJNSI_IJLi1ELi2EEEENSI_IJLi3ELi4EEEENSI_IJLi5EEEEEEENSI_IJLi3ELi5ELi4EEEElEENS3_INS4_IJNS5_IS6_NS4_IJS8_iEEELb0EEESE_SG_EEENS4_IJSJ_SL_SK_EEESQ_SR_lEENS3_INS4_IJSA_SG_SG_EEESW_NS4_IJSN_NSI_IJLi3EEEENSI_IJLi4EEEEEEESO_lEENS_16tensor_operation12element_wise11PassThroughES15_S15_Li16ELi128ELi4ELi16ELi16ELi4ELi1ELi2ENSI_IJLi16ELi16ELi1EEEENSI_IJLi1ELi0ELi2EEEES17_Li2ELi4ELi4ELb0ELb1ELi4ELb0ELi4ENSI_IJLi0ELi2ELi4ELi5ELi6ELi1ELi3ELi7EEEELi7ELi1EEEffSS_SX_S12_S15_S15_S15_NS_13TensorAdaptorINS4_IJNSB_IS6_Lb0EEES1B_NS_23Merge_v2_magic_divisionINS4_IJiiiiEEEEEEEENS4_IJSJ_SL_NSI_IJLi2ELi3ELi4ELi5EEEEEEENS4_IJNSI_IJLi2ELi4EEEENSI_IJLi3ELi5EEEENSI_IJLi6EEEEEEENSI_IJLi0ELi1EEEES1K_EELb1EEEvPKT0_S1Q_PT1_T2_T3_T4_T5_T6_T7_T8_.private_seg_size, 0
	.set _ZN2ck32kernel_gemm_xdlops_skip_b_lds_v1INS_48GridwiseGemm_k0mk1_k0nk1_mn_xdlops_skip_b_lds_v1ILi256EfffLNS_25InMemoryDataOperationEnumE0ENS_16TensorDescriptorINS_5TupleIJNS_5EmbedINS4_IJiiEEENS4_IJiNS_17integral_constantIiLi1EEEEEELb0EEENS_7UnMergeINS4_IJiNS7_IiLi4EEEEEELb0EEENS_11PassThroughIiEEEEENS4_IJNS_8SequenceIJLi0EEEENSI_IJLi2EEEENSI_IJLi1EEEEEEENS4_IJNSI_IJLi1ELi2EEEENSI_IJLi3ELi4EEEENSI_IJLi5EEEEEEENSI_IJLi3ELi5ELi4EEEElEENS3_INS4_IJNS5_IS6_NS4_IJS8_iEEELb0EEESE_SG_EEENS4_IJSJ_SL_SK_EEESQ_SR_lEENS3_INS4_IJSA_SG_SG_EEESW_NS4_IJSN_NSI_IJLi3EEEENSI_IJLi4EEEEEEESO_lEENS_16tensor_operation12element_wise11PassThroughES15_S15_Li16ELi128ELi4ELi16ELi16ELi4ELi1ELi2ENSI_IJLi16ELi16ELi1EEEENSI_IJLi1ELi0ELi2EEEES17_Li2ELi4ELi4ELb0ELb1ELi4ELb0ELi4ENSI_IJLi0ELi2ELi4ELi5ELi6ELi1ELi3ELi7EEEELi7ELi1EEEffSS_SX_S12_S15_S15_S15_NS_13TensorAdaptorINS4_IJNSB_IS6_Lb0EEES1B_NS_23Merge_v2_magic_divisionINS4_IJiiiiEEEEEEEENS4_IJSJ_SL_NSI_IJLi2ELi3ELi4ELi5EEEEEEENS4_IJNSI_IJLi2ELi4EEEENSI_IJLi3ELi5EEEENSI_IJLi6EEEEEEENSI_IJLi0ELi1EEEES1K_EELb1EEEvPKT0_S1Q_PT1_T2_T3_T4_T5_T6_T7_T8_.uses_vcc, 0
	.set _ZN2ck32kernel_gemm_xdlops_skip_b_lds_v1INS_48GridwiseGemm_k0mk1_k0nk1_mn_xdlops_skip_b_lds_v1ILi256EfffLNS_25InMemoryDataOperationEnumE0ENS_16TensorDescriptorINS_5TupleIJNS_5EmbedINS4_IJiiEEENS4_IJiNS_17integral_constantIiLi1EEEEEELb0EEENS_7UnMergeINS4_IJiNS7_IiLi4EEEEEELb0EEENS_11PassThroughIiEEEEENS4_IJNS_8SequenceIJLi0EEEENSI_IJLi2EEEENSI_IJLi1EEEEEEENS4_IJNSI_IJLi1ELi2EEEENSI_IJLi3ELi4EEEENSI_IJLi5EEEEEEENSI_IJLi3ELi5ELi4EEEElEENS3_INS4_IJNS5_IS6_NS4_IJS8_iEEELb0EEESE_SG_EEENS4_IJSJ_SL_SK_EEESQ_SR_lEENS3_INS4_IJSA_SG_SG_EEESW_NS4_IJSN_NSI_IJLi3EEEENSI_IJLi4EEEEEEESO_lEENS_16tensor_operation12element_wise11PassThroughES15_S15_Li16ELi128ELi4ELi16ELi16ELi4ELi1ELi2ENSI_IJLi16ELi16ELi1EEEENSI_IJLi1ELi0ELi2EEEES17_Li2ELi4ELi4ELb0ELb1ELi4ELb0ELi4ENSI_IJLi0ELi2ELi4ELi5ELi6ELi1ELi3ELi7EEEELi7ELi1EEEffSS_SX_S12_S15_S15_S15_NS_13TensorAdaptorINS4_IJNSB_IS6_Lb0EEES1B_NS_23Merge_v2_magic_divisionINS4_IJiiiiEEEEEEEENS4_IJSJ_SL_NSI_IJLi2ELi3ELi4ELi5EEEEEEENS4_IJNSI_IJLi2ELi4EEEENSI_IJLi3ELi5EEEENSI_IJLi6EEEEEEENSI_IJLi0ELi1EEEES1K_EELb1EEEvPKT0_S1Q_PT1_T2_T3_T4_T5_T6_T7_T8_.uses_flat_scratch, 0
	.set _ZN2ck32kernel_gemm_xdlops_skip_b_lds_v1INS_48GridwiseGemm_k0mk1_k0nk1_mn_xdlops_skip_b_lds_v1ILi256EfffLNS_25InMemoryDataOperationEnumE0ENS_16TensorDescriptorINS_5TupleIJNS_5EmbedINS4_IJiiEEENS4_IJiNS_17integral_constantIiLi1EEEEEELb0EEENS_7UnMergeINS4_IJiNS7_IiLi4EEEEEELb0EEENS_11PassThroughIiEEEEENS4_IJNS_8SequenceIJLi0EEEENSI_IJLi2EEEENSI_IJLi1EEEEEEENS4_IJNSI_IJLi1ELi2EEEENSI_IJLi3ELi4EEEENSI_IJLi5EEEEEEENSI_IJLi3ELi5ELi4EEEElEENS3_INS4_IJNS5_IS6_NS4_IJS8_iEEELb0EEESE_SG_EEENS4_IJSJ_SL_SK_EEESQ_SR_lEENS3_INS4_IJSA_SG_SG_EEESW_NS4_IJSN_NSI_IJLi3EEEENSI_IJLi4EEEEEEESO_lEENS_16tensor_operation12element_wise11PassThroughES15_S15_Li16ELi128ELi4ELi16ELi16ELi4ELi1ELi2ENSI_IJLi16ELi16ELi1EEEENSI_IJLi1ELi0ELi2EEEES17_Li2ELi4ELi4ELb0ELb1ELi4ELb0ELi4ENSI_IJLi0ELi2ELi4ELi5ELi6ELi1ELi3ELi7EEEELi7ELi1EEEffSS_SX_S12_S15_S15_S15_NS_13TensorAdaptorINS4_IJNSB_IS6_Lb0EEES1B_NS_23Merge_v2_magic_divisionINS4_IJiiiiEEEEEEEENS4_IJSJ_SL_NSI_IJLi2ELi3ELi4ELi5EEEEEEENS4_IJNSI_IJLi2ELi4EEEENSI_IJLi3ELi5EEEENSI_IJLi6EEEEEEENSI_IJLi0ELi1EEEES1K_EELb1EEEvPKT0_S1Q_PT1_T2_T3_T4_T5_T6_T7_T8_.has_dyn_sized_stack, 0
	.set _ZN2ck32kernel_gemm_xdlops_skip_b_lds_v1INS_48GridwiseGemm_k0mk1_k0nk1_mn_xdlops_skip_b_lds_v1ILi256EfffLNS_25InMemoryDataOperationEnumE0ENS_16TensorDescriptorINS_5TupleIJNS_5EmbedINS4_IJiiEEENS4_IJiNS_17integral_constantIiLi1EEEEEELb0EEENS_7UnMergeINS4_IJiNS7_IiLi4EEEEEELb0EEENS_11PassThroughIiEEEEENS4_IJNS_8SequenceIJLi0EEEENSI_IJLi2EEEENSI_IJLi1EEEEEEENS4_IJNSI_IJLi1ELi2EEEENSI_IJLi3ELi4EEEENSI_IJLi5EEEEEEENSI_IJLi3ELi5ELi4EEEElEENS3_INS4_IJNS5_IS6_NS4_IJS8_iEEELb0EEESE_SG_EEENS4_IJSJ_SL_SK_EEESQ_SR_lEENS3_INS4_IJSA_SG_SG_EEESW_NS4_IJSN_NSI_IJLi3EEEENSI_IJLi4EEEEEEESO_lEENS_16tensor_operation12element_wise11PassThroughES15_S15_Li16ELi128ELi4ELi16ELi16ELi4ELi1ELi2ENSI_IJLi16ELi16ELi1EEEENSI_IJLi1ELi0ELi2EEEES17_Li2ELi4ELi4ELb0ELb1ELi4ELb0ELi4ENSI_IJLi0ELi2ELi4ELi5ELi6ELi1ELi3ELi7EEEELi7ELi1EEEffSS_SX_S12_S15_S15_S15_NS_13TensorAdaptorINS4_IJNSB_IS6_Lb0EEES1B_NS_23Merge_v2_magic_divisionINS4_IJiiiiEEEEEEEENS4_IJSJ_SL_NSI_IJLi2ELi3ELi4ELi5EEEEEEENS4_IJNSI_IJLi2ELi4EEEENSI_IJLi3ELi5EEEENSI_IJLi6EEEEEEENSI_IJLi0ELi1EEEES1K_EELb1EEEvPKT0_S1Q_PT1_T2_T3_T4_T5_T6_T7_T8_.has_recursion, 0
	.set _ZN2ck32kernel_gemm_xdlops_skip_b_lds_v1INS_48GridwiseGemm_k0mk1_k0nk1_mn_xdlops_skip_b_lds_v1ILi256EfffLNS_25InMemoryDataOperationEnumE0ENS_16TensorDescriptorINS_5TupleIJNS_5EmbedINS4_IJiiEEENS4_IJiNS_17integral_constantIiLi1EEEEEELb0EEENS_7UnMergeINS4_IJiNS7_IiLi4EEEEEELb0EEENS_11PassThroughIiEEEEENS4_IJNS_8SequenceIJLi0EEEENSI_IJLi2EEEENSI_IJLi1EEEEEEENS4_IJNSI_IJLi1ELi2EEEENSI_IJLi3ELi4EEEENSI_IJLi5EEEEEEENSI_IJLi3ELi5ELi4EEEElEENS3_INS4_IJNS5_IS6_NS4_IJS8_iEEELb0EEESE_SG_EEENS4_IJSJ_SL_SK_EEESQ_SR_lEENS3_INS4_IJSA_SG_SG_EEESW_NS4_IJSN_NSI_IJLi3EEEENSI_IJLi4EEEEEEESO_lEENS_16tensor_operation12element_wise11PassThroughES15_S15_Li16ELi128ELi4ELi16ELi16ELi4ELi1ELi2ENSI_IJLi16ELi16ELi1EEEENSI_IJLi1ELi0ELi2EEEES17_Li2ELi4ELi4ELb0ELb1ELi4ELb0ELi4ENSI_IJLi0ELi2ELi4ELi5ELi6ELi1ELi3ELi7EEEELi7ELi1EEEffSS_SX_S12_S15_S15_S15_NS_13TensorAdaptorINS4_IJNSB_IS6_Lb0EEES1B_NS_23Merge_v2_magic_divisionINS4_IJiiiiEEEEEEEENS4_IJSJ_SL_NSI_IJLi2ELi3ELi4ELi5EEEEEEENS4_IJNSI_IJLi2ELi4EEEENSI_IJLi3ELi5EEEENSI_IJLi6EEEEEEENSI_IJLi0ELi1EEEES1K_EELb1EEEvPKT0_S1Q_PT1_T2_T3_T4_T5_T6_T7_T8_.has_indirect_call, 0
	.section	.AMDGPU.csdata,"",@progbits
; Kernel info:
; codeLenInByte = 2024
; TotalNumSgprs: 35
; NumVgprs: 64
; NumAgprs: 0
; TotalNumVgprs: 64
; ScratchSize: 0
; MemoryBound: 0
; FloatMode: 240
; IeeeMode: 1
; LDSByteSize: 1072 bytes/workgroup (compile time only)
; SGPRBlocks: 4
; VGPRBlocks: 7
; NumSGPRsForWavesPerEU: 35
; NumVGPRsForWavesPerEU: 64
; AccumOffset: 64
; Occupancy: 8
; WaveLimiterHint : 0
; COMPUTE_PGM_RSRC2:SCRATCH_EN: 0
; COMPUTE_PGM_RSRC2:USER_SGPR: 2
; COMPUTE_PGM_RSRC2:TRAP_HANDLER: 0
; COMPUTE_PGM_RSRC2:TGID_X_EN: 1
; COMPUTE_PGM_RSRC2:TGID_Y_EN: 0
; COMPUTE_PGM_RSRC2:TGID_Z_EN: 0
; COMPUTE_PGM_RSRC2:TIDIG_COMP_CNT: 0
; COMPUTE_PGM_RSRC3_GFX90A:ACCUM_OFFSET: 15
; COMPUTE_PGM_RSRC3_GFX90A:TG_SPLIT: 0
	.section	.text._ZN2ck32kernel_gemm_xdlops_skip_b_lds_v1INS_48GridwiseGemm_k0mk1_k0nk1_mn_xdlops_skip_b_lds_v1ILi256EfffLNS_25InMemoryDataOperationEnumE0ENS_16TensorDescriptorINS_5TupleIJNS_5EmbedINS4_IJiiEEENS4_IJiNS_17integral_constantIiLi1EEEEEELb0EEENS_7UnMergeINS4_IJiNS7_IiLi4EEEEEELb0EEENS_11PassThroughIiEEEEENS4_IJNS_8SequenceIJLi0EEEENSI_IJLi2EEEENSI_IJLi1EEEEEEENS4_IJNSI_IJLi1ELi2EEEENSI_IJLi3ELi4EEEENSI_IJLi5EEEEEEENSI_IJLi3ELi5ELi4EEEElEENS3_INS4_IJNS5_IS6_NS4_IJS8_iEEELb0EEESE_SG_EEENS4_IJSJ_SL_SK_EEESQ_SR_lEENS3_INS4_IJSA_SG_SG_EEESW_NS4_IJSN_NSI_IJLi3EEEENSI_IJLi4EEEEEEESO_lEENS_16tensor_operation12element_wise11PassThroughES15_S15_Li16ELi128ELi4ELi16ELi16ELi4ELi1ELi2ENSI_IJLi16ELi16ELi1EEEENSI_IJLi1ELi0ELi2EEEES17_Li2ELi4ELi4ELb0ELb1ELi4ELb0ELi4ENSI_IJLi0ELi2ELi4ELi5ELi6ELi1ELi3ELi7EEEELi7ELi1EEEffSS_SX_S12_S15_S15_S15_NS_13TensorAdaptorINS4_IJNSB_IS6_Lb0EEES1B_NS_23Merge_v2_magic_divisionINS4_IJiiiiEEEEEEEENS4_IJSJ_SL_NSI_IJLi2ELi3ELi4ELi5EEEEEEENS4_IJNSI_IJLi2ELi4EEEENSI_IJLi3ELi5EEEENSI_IJLi6EEEEEEENSI_IJLi0ELi1EEEES1K_EELb0EEEvPKT0_S1Q_PT1_T2_T3_T4_T5_T6_T7_T8_,"axG",@progbits,_ZN2ck32kernel_gemm_xdlops_skip_b_lds_v1INS_48GridwiseGemm_k0mk1_k0nk1_mn_xdlops_skip_b_lds_v1ILi256EfffLNS_25InMemoryDataOperationEnumE0ENS_16TensorDescriptorINS_5TupleIJNS_5EmbedINS4_IJiiEEENS4_IJiNS_17integral_constantIiLi1EEEEEELb0EEENS_7UnMergeINS4_IJiNS7_IiLi4EEEEEELb0EEENS_11PassThroughIiEEEEENS4_IJNS_8SequenceIJLi0EEEENSI_IJLi2EEEENSI_IJLi1EEEEEEENS4_IJNSI_IJLi1ELi2EEEENSI_IJLi3ELi4EEEENSI_IJLi5EEEEEEENSI_IJLi3ELi5ELi4EEEElEENS3_INS4_IJNS5_IS6_NS4_IJS8_iEEELb0EEESE_SG_EEENS4_IJSJ_SL_SK_EEESQ_SR_lEENS3_INS4_IJSA_SG_SG_EEESW_NS4_IJSN_NSI_IJLi3EEEENSI_IJLi4EEEEEEESO_lEENS_16tensor_operation12element_wise11PassThroughES15_S15_Li16ELi128ELi4ELi16ELi16ELi4ELi1ELi2ENSI_IJLi16ELi16ELi1EEEENSI_IJLi1ELi0ELi2EEEES17_Li2ELi4ELi4ELb0ELb1ELi4ELb0ELi4ENSI_IJLi0ELi2ELi4ELi5ELi6ELi1ELi3ELi7EEEELi7ELi1EEEffSS_SX_S12_S15_S15_S15_NS_13TensorAdaptorINS4_IJNSB_IS6_Lb0EEES1B_NS_23Merge_v2_magic_divisionINS4_IJiiiiEEEEEEEENS4_IJSJ_SL_NSI_IJLi2ELi3ELi4ELi5EEEEEEENS4_IJNSI_IJLi2ELi4EEEENSI_IJLi3ELi5EEEENSI_IJLi6EEEEEEENSI_IJLi0ELi1EEEES1K_EELb0EEEvPKT0_S1Q_PT1_T2_T3_T4_T5_T6_T7_T8_,comdat
	.protected	_ZN2ck32kernel_gemm_xdlops_skip_b_lds_v1INS_48GridwiseGemm_k0mk1_k0nk1_mn_xdlops_skip_b_lds_v1ILi256EfffLNS_25InMemoryDataOperationEnumE0ENS_16TensorDescriptorINS_5TupleIJNS_5EmbedINS4_IJiiEEENS4_IJiNS_17integral_constantIiLi1EEEEEELb0EEENS_7UnMergeINS4_IJiNS7_IiLi4EEEEEELb0EEENS_11PassThroughIiEEEEENS4_IJNS_8SequenceIJLi0EEEENSI_IJLi2EEEENSI_IJLi1EEEEEEENS4_IJNSI_IJLi1ELi2EEEENSI_IJLi3ELi4EEEENSI_IJLi5EEEEEEENSI_IJLi3ELi5ELi4EEEElEENS3_INS4_IJNS5_IS6_NS4_IJS8_iEEELb0EEESE_SG_EEENS4_IJSJ_SL_SK_EEESQ_SR_lEENS3_INS4_IJSA_SG_SG_EEESW_NS4_IJSN_NSI_IJLi3EEEENSI_IJLi4EEEEEEESO_lEENS_16tensor_operation12element_wise11PassThroughES15_S15_Li16ELi128ELi4ELi16ELi16ELi4ELi1ELi2ENSI_IJLi16ELi16ELi1EEEENSI_IJLi1ELi0ELi2EEEES17_Li2ELi4ELi4ELb0ELb1ELi4ELb0ELi4ENSI_IJLi0ELi2ELi4ELi5ELi6ELi1ELi3ELi7EEEELi7ELi1EEEffSS_SX_S12_S15_S15_S15_NS_13TensorAdaptorINS4_IJNSB_IS6_Lb0EEES1B_NS_23Merge_v2_magic_divisionINS4_IJiiiiEEEEEEEENS4_IJSJ_SL_NSI_IJLi2ELi3ELi4ELi5EEEEEEENS4_IJNSI_IJLi2ELi4EEEENSI_IJLi3ELi5EEEENSI_IJLi6EEEEEEENSI_IJLi0ELi1EEEES1K_EELb0EEEvPKT0_S1Q_PT1_T2_T3_T4_T5_T6_T7_T8_ ; -- Begin function _ZN2ck32kernel_gemm_xdlops_skip_b_lds_v1INS_48GridwiseGemm_k0mk1_k0nk1_mn_xdlops_skip_b_lds_v1ILi256EfffLNS_25InMemoryDataOperationEnumE0ENS_16TensorDescriptorINS_5TupleIJNS_5EmbedINS4_IJiiEEENS4_IJiNS_17integral_constantIiLi1EEEEEELb0EEENS_7UnMergeINS4_IJiNS7_IiLi4EEEEEELb0EEENS_11PassThroughIiEEEEENS4_IJNS_8SequenceIJLi0EEEENSI_IJLi2EEEENSI_IJLi1EEEEEEENS4_IJNSI_IJLi1ELi2EEEENSI_IJLi3ELi4EEEENSI_IJLi5EEEEEEENSI_IJLi3ELi5ELi4EEEElEENS3_INS4_IJNS5_IS6_NS4_IJS8_iEEELb0EEESE_SG_EEENS4_IJSJ_SL_SK_EEESQ_SR_lEENS3_INS4_IJSA_SG_SG_EEESW_NS4_IJSN_NSI_IJLi3EEEENSI_IJLi4EEEEEEESO_lEENS_16tensor_operation12element_wise11PassThroughES15_S15_Li16ELi128ELi4ELi16ELi16ELi4ELi1ELi2ENSI_IJLi16ELi16ELi1EEEENSI_IJLi1ELi0ELi2EEEES17_Li2ELi4ELi4ELb0ELb1ELi4ELb0ELi4ENSI_IJLi0ELi2ELi4ELi5ELi6ELi1ELi3ELi7EEEELi7ELi1EEEffSS_SX_S12_S15_S15_S15_NS_13TensorAdaptorINS4_IJNSB_IS6_Lb0EEES1B_NS_23Merge_v2_magic_divisionINS4_IJiiiiEEEEEEEENS4_IJSJ_SL_NSI_IJLi2ELi3ELi4ELi5EEEEEEENS4_IJNSI_IJLi2ELi4EEEENSI_IJLi3ELi5EEEENSI_IJLi6EEEEEEENSI_IJLi0ELi1EEEES1K_EELb0EEEvPKT0_S1Q_PT1_T2_T3_T4_T5_T6_T7_T8_
	.globl	_ZN2ck32kernel_gemm_xdlops_skip_b_lds_v1INS_48GridwiseGemm_k0mk1_k0nk1_mn_xdlops_skip_b_lds_v1ILi256EfffLNS_25InMemoryDataOperationEnumE0ENS_16TensorDescriptorINS_5TupleIJNS_5EmbedINS4_IJiiEEENS4_IJiNS_17integral_constantIiLi1EEEEEELb0EEENS_7UnMergeINS4_IJiNS7_IiLi4EEEEEELb0EEENS_11PassThroughIiEEEEENS4_IJNS_8SequenceIJLi0EEEENSI_IJLi2EEEENSI_IJLi1EEEEEEENS4_IJNSI_IJLi1ELi2EEEENSI_IJLi3ELi4EEEENSI_IJLi5EEEEEEENSI_IJLi3ELi5ELi4EEEElEENS3_INS4_IJNS5_IS6_NS4_IJS8_iEEELb0EEESE_SG_EEENS4_IJSJ_SL_SK_EEESQ_SR_lEENS3_INS4_IJSA_SG_SG_EEESW_NS4_IJSN_NSI_IJLi3EEEENSI_IJLi4EEEEEEESO_lEENS_16tensor_operation12element_wise11PassThroughES15_S15_Li16ELi128ELi4ELi16ELi16ELi4ELi1ELi2ENSI_IJLi16ELi16ELi1EEEENSI_IJLi1ELi0ELi2EEEES17_Li2ELi4ELi4ELb0ELb1ELi4ELb0ELi4ENSI_IJLi0ELi2ELi4ELi5ELi6ELi1ELi3ELi7EEEELi7ELi1EEEffSS_SX_S12_S15_S15_S15_NS_13TensorAdaptorINS4_IJNSB_IS6_Lb0EEES1B_NS_23Merge_v2_magic_divisionINS4_IJiiiiEEEEEEEENS4_IJSJ_SL_NSI_IJLi2ELi3ELi4ELi5EEEEEEENS4_IJNSI_IJLi2ELi4EEEENSI_IJLi3ELi5EEEENSI_IJLi6EEEEEEENSI_IJLi0ELi1EEEES1K_EELb0EEEvPKT0_S1Q_PT1_T2_T3_T4_T5_T6_T7_T8_
	.p2align	8
	.type	_ZN2ck32kernel_gemm_xdlops_skip_b_lds_v1INS_48GridwiseGemm_k0mk1_k0nk1_mn_xdlops_skip_b_lds_v1ILi256EfffLNS_25InMemoryDataOperationEnumE0ENS_16TensorDescriptorINS_5TupleIJNS_5EmbedINS4_IJiiEEENS4_IJiNS_17integral_constantIiLi1EEEEEELb0EEENS_7UnMergeINS4_IJiNS7_IiLi4EEEEEELb0EEENS_11PassThroughIiEEEEENS4_IJNS_8SequenceIJLi0EEEENSI_IJLi2EEEENSI_IJLi1EEEEEEENS4_IJNSI_IJLi1ELi2EEEENSI_IJLi3ELi4EEEENSI_IJLi5EEEEEEENSI_IJLi3ELi5ELi4EEEElEENS3_INS4_IJNS5_IS6_NS4_IJS8_iEEELb0EEESE_SG_EEENS4_IJSJ_SL_SK_EEESQ_SR_lEENS3_INS4_IJSA_SG_SG_EEESW_NS4_IJSN_NSI_IJLi3EEEENSI_IJLi4EEEEEEESO_lEENS_16tensor_operation12element_wise11PassThroughES15_S15_Li16ELi128ELi4ELi16ELi16ELi4ELi1ELi2ENSI_IJLi16ELi16ELi1EEEENSI_IJLi1ELi0ELi2EEEES17_Li2ELi4ELi4ELb0ELb1ELi4ELb0ELi4ENSI_IJLi0ELi2ELi4ELi5ELi6ELi1ELi3ELi7EEEELi7ELi1EEEffSS_SX_S12_S15_S15_S15_NS_13TensorAdaptorINS4_IJNSB_IS6_Lb0EEES1B_NS_23Merge_v2_magic_divisionINS4_IJiiiiEEEEEEEENS4_IJSJ_SL_NSI_IJLi2ELi3ELi4ELi5EEEEEEENS4_IJNSI_IJLi2ELi4EEEENSI_IJLi3ELi5EEEENSI_IJLi6EEEEEEENSI_IJLi0ELi1EEEES1K_EELb0EEEvPKT0_S1Q_PT1_T2_T3_T4_T5_T6_T7_T8_,@function
_ZN2ck32kernel_gemm_xdlops_skip_b_lds_v1INS_48GridwiseGemm_k0mk1_k0nk1_mn_xdlops_skip_b_lds_v1ILi256EfffLNS_25InMemoryDataOperationEnumE0ENS_16TensorDescriptorINS_5TupleIJNS_5EmbedINS4_IJiiEEENS4_IJiNS_17integral_constantIiLi1EEEEEELb0EEENS_7UnMergeINS4_IJiNS7_IiLi4EEEEEELb0EEENS_11PassThroughIiEEEEENS4_IJNS_8SequenceIJLi0EEEENSI_IJLi2EEEENSI_IJLi1EEEEEEENS4_IJNSI_IJLi1ELi2EEEENSI_IJLi3ELi4EEEENSI_IJLi5EEEEEEENSI_IJLi3ELi5ELi4EEEElEENS3_INS4_IJNS5_IS6_NS4_IJS8_iEEELb0EEESE_SG_EEENS4_IJSJ_SL_SK_EEESQ_SR_lEENS3_INS4_IJSA_SG_SG_EEESW_NS4_IJSN_NSI_IJLi3EEEENSI_IJLi4EEEEEEESO_lEENS_16tensor_operation12element_wise11PassThroughES15_S15_Li16ELi128ELi4ELi16ELi16ELi4ELi1ELi2ENSI_IJLi16ELi16ELi1EEEENSI_IJLi1ELi0ELi2EEEES17_Li2ELi4ELi4ELb0ELb1ELi4ELb0ELi4ENSI_IJLi0ELi2ELi4ELi5ELi6ELi1ELi3ELi7EEEELi7ELi1EEEffSS_SX_S12_S15_S15_S15_NS_13TensorAdaptorINS4_IJNSB_IS6_Lb0EEES1B_NS_23Merge_v2_magic_divisionINS4_IJiiiiEEEEEEEENS4_IJSJ_SL_NSI_IJLi2ELi3ELi4ELi5EEEEEEENS4_IJNSI_IJLi2ELi4EEEENSI_IJLi3ELi5EEEENSI_IJLi6EEEEEEENSI_IJLi0ELi1EEEES1K_EELb0EEEvPKT0_S1Q_PT1_T2_T3_T4_T5_T6_T7_T8_: ; @_ZN2ck32kernel_gemm_xdlops_skip_b_lds_v1INS_48GridwiseGemm_k0mk1_k0nk1_mn_xdlops_skip_b_lds_v1ILi256EfffLNS_25InMemoryDataOperationEnumE0ENS_16TensorDescriptorINS_5TupleIJNS_5EmbedINS4_IJiiEEENS4_IJiNS_17integral_constantIiLi1EEEEEELb0EEENS_7UnMergeINS4_IJiNS7_IiLi4EEEEEELb0EEENS_11PassThroughIiEEEEENS4_IJNS_8SequenceIJLi0EEEENSI_IJLi2EEEENSI_IJLi1EEEEEEENS4_IJNSI_IJLi1ELi2EEEENSI_IJLi3ELi4EEEENSI_IJLi5EEEEEEENSI_IJLi3ELi5ELi4EEEElEENS3_INS4_IJNS5_IS6_NS4_IJS8_iEEELb0EEESE_SG_EEENS4_IJSJ_SL_SK_EEESQ_SR_lEENS3_INS4_IJSA_SG_SG_EEESW_NS4_IJSN_NSI_IJLi3EEEENSI_IJLi4EEEEEEESO_lEENS_16tensor_operation12element_wise11PassThroughES15_S15_Li16ELi128ELi4ELi16ELi16ELi4ELi1ELi2ENSI_IJLi16ELi16ELi1EEEENSI_IJLi1ELi0ELi2EEEES17_Li2ELi4ELi4ELb0ELb1ELi4ELb0ELi4ENSI_IJLi0ELi2ELi4ELi5ELi6ELi1ELi3ELi7EEEELi7ELi1EEEffSS_SX_S12_S15_S15_S15_NS_13TensorAdaptorINS4_IJNSB_IS6_Lb0EEES1B_NS_23Merge_v2_magic_divisionINS4_IJiiiiEEEEEEEENS4_IJSJ_SL_NSI_IJLi2ELi3ELi4ELi5EEEEEEENS4_IJNSI_IJLi2ELi4EEEENSI_IJLi3ELi5EEEENSI_IJLi6EEEEEEENSI_IJLi0ELi1EEEES1K_EELb0EEEvPKT0_S1Q_PT1_T2_T3_T4_T5_T6_T7_T8_
; %bb.0:
	s_load_dwordx4 s[8:11], s[0:1], 0x0
	s_load_dwordx2 s[4:5], s[0:1], 0x10
	s_load_dwordx2 s[6:7], s[0:1], 0xc8
	s_load_dwordx8 s[12:19], s[0:1], 0xd8
	s_getpc_b64 s[20:21]
	s_add_u32 s20, s20, _ZN2ck48GridwiseGemm_k0mk1_k0nk1_mn_xdlops_skip_b_lds_v1ILi256EfffLNS_25InMemoryDataOperationEnumE0ENS_16TensorDescriptorINS_5TupleIJNS_5EmbedINS3_IJiiEEENS3_IJiNS_17integral_constantIiLi1EEEEEELb0EEENS_7UnMergeINS3_IJiNS6_IiLi4EEEEEELb0EEENS_11PassThroughIiEEEEENS3_IJNS_8SequenceIJLi0EEEENSH_IJLi2EEEENSH_IJLi1EEEEEEENS3_IJNSH_IJLi1ELi2EEEENSH_IJLi3ELi4EEEENSH_IJLi5EEEEEEENSH_IJLi3ELi5ELi4EEEElEENS2_INS3_IJNS4_IS5_NS3_IJS7_iEEELb0EEESD_SF_EEENS3_IJSI_SK_SJ_EEESP_SQ_lEENS2_INS3_IJS9_SF_SF_EEESV_NS3_IJSM_NSH_IJLi3EEEENSH_IJLi4EEEEEEESN_lEENS_16tensor_operation12element_wise11PassThroughES14_S14_Li16ELi128ELi4ELi16ELi16ELi4ELi1ELi2ENSH_IJLi16ELi16ELi1EEEENSH_IJLi1ELi0ELi2EEEES16_Li2ELi4ELi4ELb0ELb1ELi4ELb0ELi4ENSH_IJLi0ELi2ELi4ELi5ELi6ELi1ELi3ELi7EEEELi7ELi1EE11K0PerThreadE@rel32@lo+4
	s_addc_u32 s21, s21, _ZN2ck48GridwiseGemm_k0mk1_k0nk1_mn_xdlops_skip_b_lds_v1ILi256EfffLNS_25InMemoryDataOperationEnumE0ENS_16TensorDescriptorINS_5TupleIJNS_5EmbedINS3_IJiiEEENS3_IJiNS_17integral_constantIiLi1EEEEEELb0EEENS_7UnMergeINS3_IJiNS6_IiLi4EEEEEELb0EEENS_11PassThroughIiEEEEENS3_IJNS_8SequenceIJLi0EEEENSH_IJLi2EEEENSH_IJLi1EEEEEEENS3_IJNSH_IJLi1ELi2EEEENSH_IJLi3ELi4EEEENSH_IJLi5EEEEEEENSH_IJLi3ELi5ELi4EEEElEENS2_INS3_IJNS4_IS5_NS3_IJS7_iEEELb0EEESD_SF_EEENS3_IJSI_SK_SJ_EEESP_SQ_lEENS2_INS3_IJS9_SF_SF_EEESV_NS3_IJSM_NSH_IJLi3EEEENSH_IJLi4EEEEEEESN_lEENS_16tensor_operation12element_wise11PassThroughES14_S14_Li16ELi128ELi4ELi16ELi16ELi4ELi1ELi2ENSH_IJLi16ELi16ELi1EEEENSH_IJLi1ELi0ELi2EEEES16_Li2ELi4ELi4ELb0ELb1ELi4ELb0ELi4ENSH_IJLi0ELi2ELi4ELi5ELi6ELi1ELi3ELi7EEEELi7ELi1EE11K0PerThreadE@rel32@hi+12
	s_waitcnt lgkmcnt(0)
	s_load_dword s15, s[20:21], 0x0
	s_getpc_b64 s[20:21]
	s_add_u32 s20, s20, _ZN2ck48GridwiseGemm_k0mk1_k0nk1_mn_xdlops_skip_b_lds_v1ILi256EfffLNS_25InMemoryDataOperationEnumE0ENS_16TensorDescriptorINS_5TupleIJNS_5EmbedINS3_IJiiEEENS3_IJiNS_17integral_constantIiLi1EEEEEELb0EEENS_7UnMergeINS3_IJiNS6_IiLi4EEEEEELb0EEENS_11PassThroughIiEEEEENS3_IJNS_8SequenceIJLi0EEEENSH_IJLi2EEEENSH_IJLi1EEEEEEENS3_IJNSH_IJLi1ELi2EEEENSH_IJLi3ELi4EEEENSH_IJLi5EEEEEEENSH_IJLi3ELi5ELi4EEEElEENS2_INS3_IJNS4_IS5_NS3_IJS7_iEEELb0EEESD_SF_EEENS3_IJSI_SK_SJ_EEESP_SQ_lEENS2_INS3_IJS9_SF_SF_EEESV_NS3_IJSM_NSH_IJLi3EEEENSH_IJLi4EEEEEEESN_lEENS_16tensor_operation12element_wise11PassThroughES14_S14_Li16ELi128ELi4ELi16ELi16ELi4ELi1ELi2ENSH_IJLi16ELi16ELi1EEEENSH_IJLi1ELi0ELi2EEEES16_Li2ELi4ELi4ELb0ELb1ELi4ELb0ELi4ENSH_IJLi0ELi2ELi4ELi5ELi6ELi1ELi3ELi7EEEELi7ELi1EE6NWavesE@rel32@lo+4
	s_addc_u32 s21, s21, _ZN2ck48GridwiseGemm_k0mk1_k0nk1_mn_xdlops_skip_b_lds_v1ILi256EfffLNS_25InMemoryDataOperationEnumE0ENS_16TensorDescriptorINS_5TupleIJNS_5EmbedINS3_IJiiEEENS3_IJiNS_17integral_constantIiLi1EEEEEELb0EEENS_7UnMergeINS3_IJiNS6_IiLi4EEEEEELb0EEENS_11PassThroughIiEEEEENS3_IJNS_8SequenceIJLi0EEEENSH_IJLi2EEEENSH_IJLi1EEEEEEENS3_IJNSH_IJLi1ELi2EEEENSH_IJLi3ELi4EEEENSH_IJLi5EEEEEEENSH_IJLi3ELi5ELi4EEEElEENS2_INS3_IJNS4_IS5_NS3_IJS7_iEEELb0EEESD_SF_EEENS3_IJSI_SK_SJ_EEESP_SQ_lEENS2_INS3_IJS9_SF_SF_EEESV_NS3_IJSM_NSH_IJLi3EEEENSH_IJLi4EEEEEEESN_lEENS_16tensor_operation12element_wise11PassThroughES14_S14_Li16ELi128ELi4ELi16ELi16ELi4ELi1ELi2ENSH_IJLi16ELi16ELi1EEEENSH_IJLi1ELi0ELi2EEEES16_Li2ELi4ELi4ELb0ELb1ELi4ELb0ELi4ENSH_IJLi0ELi2ELi4ELi5ELi6ELi1ELi3ELi7EEEELi7ELi1EE6NWavesE@rel32@hi+12
	s_load_dword s19, s[20:21], 0x0
	s_mul_hi_u32 s3, s14, s2
	s_add_i32 s3, s2, s3
	s_lshr_b32 s3, s3, s18
	s_mul_hi_u32 s13, s3, s13
	s_add_i32 s13, s3, s13
	s_lshr_b32 s13, s13, s17
	;; [unrolled: 3-line block ×3, first 2 shown]
	s_load_dword s16, s[0:1], 0x20
	s_load_dword s17, s[0:1], 0x40
	;; [unrolled: 1-line block ×8, first 2 shown]
	s_waitcnt lgkmcnt(0)
	s_mul_i32 s20, s14, s20
	s_load_dword s0, s[0:1], 0xd0
	s_mul_i32 s1, s13, s7
	s_sub_i32 s1, s3, s1
	s_mul_i32 s14, s14, s6
	s_sub_i32 s6, s13, s14
	s_add_i32 s14, s1, s20
	v_lshrrev_b32_e32 v1, 4, v0
	s_waitcnt lgkmcnt(0)
	s_mul_i32 s3, s3, s0
	v_and_b32_e32 v14, 15, v0
	v_lshl_or_b32 v1, s14, 4, v1
	s_mul_i32 s6, s6, s23
	s_sub_i32 s0, s2, s3
	v_lshlrev_b32_e32 v16, 4, v14
	v_mul_lo_u32 v1, s16, v1
	s_add_i32 s13, s6, s0
	s_lshl_b32 s2, s17, 2
	s_and_b32 s1, s9, 0xffff
	s_mov_b32 s3, 0x20000
	s_mov_b32 s0, s8
	v_lshl_add_u32 v1, v1, 2, v16
	v_lshrrev_b32_e32 v50, 2, v0
	buffer_load_dwordx4 v[2:5], v1, s[0:3], 0 offen
	s_mul_i32 s0, s19, s13
	v_and_or_b32 v51, v50, 48, v14
	v_bfe_u32 v15, v0, 4, 2
	v_lshl_add_u32 v1, s0, 5, v51
	v_mul_lo_u32 v17, s15, v15
	v_mul_lo_u32 v1, v1, s18
	v_lshl_add_u32 v10, v17, 2, v1
	s_lshl_b32 s2, s21, 2
	s_and_b32 s1, s11, 0xffff
	s_mov_b32 s0, s10
	v_lshlrev_b32_e32 v6, 2, v10
	s_mul_i32 s19, s19, s18
	buffer_load_dwordx4 v[6:9], v6, s[0:3], 0 offen
	s_lshl_b32 s8, s19, 4
	v_add_lshl_u32 v10, v10, s8, 2
	buffer_load_dwordx4 v[10:13], v10, s[0:3], 0 offen
	s_getpc_b64 s[6:7]
	s_add_u32 s6, s6, _ZN2ck10XdlopsGemmIfLi16ELi16ELi4EfLb0ELb0EE11K0PerXdlopsE@rel32@lo+4
	s_addc_u32 s7, s7, _ZN2ck10XdlopsGemmIfLi16ELi16ELi4EfLb0ELb0EE11K0PerXdlopsE@rel32@hi+12
	s_load_dword s6, s[6:7], 0x0
	s_movk_i32 s7, 0x110
	v_and_b32_e32 v0, 0xf0, v0
	v_mad_u32_u24 v0, v14, s7, v0
	v_mad_u32_u24 v52, v15, s7, v16
	s_waitcnt lgkmcnt(0)
	s_mul_i32 s15, s15, s6
	v_add_u32_e32 v14, s15, v17
	v_add_u32_e32 v15, s15, v14
	;; [unrolled: 1-line block ×3, first 2 shown]
	v_lshl_add_u32 v14, v14, 2, v1
	v_lshl_add_u32 v15, v15, 2, v1
	;; [unrolled: 1-line block ×3, first 2 shown]
	v_lshlrev_b32_e32 v38, 2, v14
	v_add_lshl_u32 v39, v14, s8, 2
	v_lshlrev_b32_e32 v40, 2, v15
	v_add_lshl_u32 v41, v15, s8, 2
	;; [unrolled: 2-line block ×3, first 2 shown]
	buffer_load_dwordx4 v[14:17], v38, s[0:3], 0 offen
	buffer_load_dwordx4 v[18:21], v39, s[0:3], 0 offen
	;; [unrolled: 1-line block ×6, first 2 shown]
	s_getpc_b64 s[0:1]
	s_add_u32 s0, s0, _ZN2ck53BlockwiseGemmXdlops_k0mk1_k0nk1_m0n0m1n1m2m3m4n2_v1r1ILi256EffKNS_16TensorDescriptorINS_5TupleIJNS_5EmbedINS2_IJNS_17integral_constantIiLi4EEENS4_IiLi16EEES5_EEENS2_IJNS4_IiLi68EEES5_NS4_IiLi1EEEEEELb0EEEEEENS2_IJNS_8SequenceIJLi0EEEEEEENS2_IJNSD_IJLi1ELi2ELi3EEEEEEESG_NS4_IlLl268EEEEEKNS1_INS2_IJNS_7UnMergeINS2_IJS9_S9_S9_S9_NS4_IiLi2EEES9_S9_S5_EEELb0EEEEEESF_NS2_IJNSD_IJLi1ELi2ELi3ELi4ELi5ELi6ELi7ELi8EEEEEEESQ_NS4_IlLl8EEEEELi16ELi128ELi4ELi16ELi16ELi1ELi2ELi4EE6NWavesE@rel32@lo+4
	s_addc_u32 s1, s1, _ZN2ck53BlockwiseGemmXdlops_k0mk1_k0nk1_m0n0m1n1m2m3m4n2_v1r1ILi256EffKNS_16TensorDescriptorINS_5TupleIJNS_5EmbedINS2_IJNS_17integral_constantIiLi4EEENS4_IiLi16EEES5_EEENS2_IJNS4_IiLi68EEES5_NS4_IiLi1EEEEEELb0EEEEEENS2_IJNS_8SequenceIJLi0EEEEEEENS2_IJNSD_IJLi1ELi2ELi3EEEEEEESG_NS4_IlLl268EEEEEKNS1_INS2_IJNS_7UnMergeINS2_IJS9_S9_S9_S9_NS4_IiLi2EEES9_S9_S5_EEELb0EEEEEESF_NS2_IJNSD_IJLi1ELi2ELi3ELi4ELi5ELi6ELi7ELi8EEEEEEESQ_NS4_IlLl8EEEEELi16ELi128ELi4ELi16ELi16ELi1ELi2ELi4EE6NWavesE@rel32@hi+12
	s_load_dword s2, s[0:1], 0x0
	s_getpc_b64 s[0:1]
	s_add_u32 s0, s0, _ZN2ck53BlockwiseGemmXdlops_k0mk1_k0nk1_m0n0m1n1m2m3m4n2_v1r1ILi256EffKNS_16TensorDescriptorINS_5TupleIJNS_5EmbedINS2_IJNS_17integral_constantIiLi4EEENS4_IiLi16EEES5_EEENS2_IJNS4_IiLi68EEES5_NS4_IiLi1EEEEEELb0EEEEEENS2_IJNS_8SequenceIJLi0EEEEEEENS2_IJNSD_IJLi1ELi2ELi3EEEEEEESG_NS4_IlLl268EEEEEKNS1_INS2_IJNS_7UnMergeINS2_IJS9_S9_S9_S9_NS4_IiLi2EEES9_S9_S5_EEELb0EEEEEESF_NS2_IJNSD_IJLi1ELi2ELi3ELi4ELi5ELi6ELi7ELi8EEEEEEESQ_NS4_IlLl8EEEEELi16ELi128ELi4ELi16ELi16ELi1ELi2ELi4EE6MWavesE@rel32@lo+4
	s_addc_u32 s1, s1, _ZN2ck53BlockwiseGemmXdlops_k0mk1_k0nk1_m0n0m1n1m2m3m4n2_v1r1ILi256EffKNS_16TensorDescriptorINS_5TupleIJNS_5EmbedINS2_IJNS_17integral_constantIiLi4EEENS4_IiLi16EEES5_EEENS2_IJNS4_IiLi68EEES5_NS4_IiLi1EEEEEELb0EEEEEENS2_IJNS_8SequenceIJLi0EEEEEEENS2_IJNSD_IJLi1ELi2ELi3EEEEEEESG_NS4_IlLl268EEEEEKNS1_INS2_IJNS_7UnMergeINS2_IJS9_S9_S9_S9_NS4_IiLi2EEES9_S9_S5_EEELb0EEEEEESF_NS2_IJNSD_IJLi1ELi2ELi3ELi4ELi5ELi6ELi7ELi8EEEEEEESQ_NS4_IlLl8EEEEELi16ELi128ELi4ELi16ELi16ELi1ELi2ELi4EE6MWavesE@rel32@hi+12
	s_load_dword s0, s[0:1], 0x0
	s_lshl_b32 s6, s22, 2
	s_and_b32 s5, s5, 0xffff
	s_waitcnt lgkmcnt(0)
	s_lshl_b32 s1, s2, 4
	s_lshl_b32 s2, s13, 1
	s_mul_i32 s0, s0, s14
	s_and_b32 s2, s2, 0x3fffffe
	s_mul_i32 s2, s2, s1
	s_mov_b32 s7, s3
	s_waitcnt vmcnt(8)
	ds_write_b128 v0, v[2:5]
	s_waitcnt lgkmcnt(0)
	s_barrier
	ds_read_b128 v[0:3], v52
	ds_read_b128 v[38:41], v52 offset:1088
	s_waitcnt vmcnt(7) lgkmcnt(1)
	v_mfma_f32_16x16x4_f32 v[42:45], v0, v6, 0
	s_waitcnt vmcnt(6)
	v_mfma_f32_16x16x4_f32 v[46:49], v0, v10, 0
	v_mfma_f32_16x16x4_f32 v[4:7], v1, v7, v[42:45]
	;; [unrolled: 1-line block ×7, first 2 shown]
	s_waitcnt vmcnt(5) lgkmcnt(0)
	v_mfma_f32_16x16x4_f32 v[4:7], v38, v14, v[4:7]
	s_waitcnt vmcnt(4)
	v_mfma_f32_16x16x4_f32 v[0:3], v38, v18, v[0:3]
	v_mfma_f32_16x16x4_f32 v[4:7], v39, v15, v[4:7]
	ds_read_b128 v[8:11], v52 offset:2176
	ds_read_b128 v[12:15], v52 offset:3264
	v_mfma_f32_16x16x4_f32 v[0:3], v39, v19, v[0:3]
	v_mfma_f32_16x16x4_f32 v[4:7], v40, v16, v[4:7]
	;; [unrolled: 1-line block ×5, first 2 shown]
	s_waitcnt vmcnt(3) lgkmcnt(1)
	v_mfma_f32_16x16x4_f32 v[4:7], v8, v22, v[4:7]
	s_waitcnt vmcnt(2)
	v_mfma_f32_16x16x4_f32 v[0:3], v8, v26, v[0:3]
	v_and_b32_e32 v8, 12, v50
	v_lshl_or_b32 v8, s0, 4, v8
	v_mul_lo_u32 v8, v8, s12
	v_add3_u32 v8, v51, v8, s2
	v_mfma_f32_16x16x4_f32 v[4:7], v9, v23, v[4:7]
	v_mfma_f32_16x16x4_f32 v[0:3], v9, v27, v[0:3]
	v_lshlrev_b32_e32 v9, 2, v8
	v_mfma_f32_16x16x4_f32 v[4:7], v10, v24, v[4:7]
	v_mfma_f32_16x16x4_f32 v[0:3], v10, v28, v[0:3]
	;; [unrolled: 1-line block ×4, first 2 shown]
	s_waitcnt vmcnt(1) lgkmcnt(0)
	v_mfma_f32_16x16x4_f32 v[4:7], v12, v30, v[4:7]
	s_waitcnt vmcnt(0)
	v_mfma_f32_16x16x4_f32 v[0:3], v12, v34, v[0:3]
	v_mfma_f32_16x16x4_f32 v[4:7], v13, v31, v[4:7]
	;; [unrolled: 1-line block ×7, first 2 shown]
	s_nop 8
	buffer_store_dword v4, v9, s[4:7], 0 offen
	v_add_u32_e32 v4, s1, v8
	v_lshlrev_b32_e32 v9, 2, v4
	buffer_store_dword v0, v9, s[4:7], 0 offen
	v_add_u32_e32 v0, s12, v4
	v_lshlrev_b32_e32 v4, 2, v0
	;; [unrolled: 3-line block ×3, first 2 shown]
	v_add_lshl_u32 v1, v1, s12, 2
	v_add_u32_e32 v0, s12, v0
	buffer_store_dword v5, v4, s[4:7], 0 offen
	buffer_store_dword v6, v1, s[4:7], 0 offen
	v_lshlrev_b32_e32 v1, 2, v0
	v_add_u32_e32 v0, s12, v0
	buffer_store_dword v2, v1, s[4:7], 0 offen
	v_lshlrev_b32_e32 v1, 2, v0
	v_subrev_u32_e32 v0, s1, v0
	v_lshlrev_b32_e32 v0, 2, v0
	buffer_store_dword v3, v1, s[4:7], 0 offen
	buffer_store_dword v7, v0, s[4:7], 0 offen
	s_endpgm
	.section	.rodata,"a",@progbits
	.p2align	6, 0x0
	.amdhsa_kernel _ZN2ck32kernel_gemm_xdlops_skip_b_lds_v1INS_48GridwiseGemm_k0mk1_k0nk1_mn_xdlops_skip_b_lds_v1ILi256EfffLNS_25InMemoryDataOperationEnumE0ENS_16TensorDescriptorINS_5TupleIJNS_5EmbedINS4_IJiiEEENS4_IJiNS_17integral_constantIiLi1EEEEEELb0EEENS_7UnMergeINS4_IJiNS7_IiLi4EEEEEELb0EEENS_11PassThroughIiEEEEENS4_IJNS_8SequenceIJLi0EEEENSI_IJLi2EEEENSI_IJLi1EEEEEEENS4_IJNSI_IJLi1ELi2EEEENSI_IJLi3ELi4EEEENSI_IJLi5EEEEEEENSI_IJLi3ELi5ELi4EEEElEENS3_INS4_IJNS5_IS6_NS4_IJS8_iEEELb0EEESE_SG_EEENS4_IJSJ_SL_SK_EEESQ_SR_lEENS3_INS4_IJSA_SG_SG_EEESW_NS4_IJSN_NSI_IJLi3EEEENSI_IJLi4EEEEEEESO_lEENS_16tensor_operation12element_wise11PassThroughES15_S15_Li16ELi128ELi4ELi16ELi16ELi4ELi1ELi2ENSI_IJLi16ELi16ELi1EEEENSI_IJLi1ELi0ELi2EEEES17_Li2ELi4ELi4ELb0ELb1ELi4ELb0ELi4ENSI_IJLi0ELi2ELi4ELi5ELi6ELi1ELi3ELi7EEEELi7ELi1EEEffSS_SX_S12_S15_S15_S15_NS_13TensorAdaptorINS4_IJNSB_IS6_Lb0EEES1B_NS_23Merge_v2_magic_divisionINS4_IJiiiiEEEEEEEENS4_IJSJ_SL_NSI_IJLi2ELi3ELi4ELi5EEEEEEENS4_IJNSI_IJLi2ELi4EEEENSI_IJLi3ELi5EEEENSI_IJLi6EEEEEEENSI_IJLi0ELi1EEEES1K_EELb0EEEvPKT0_S1Q_PT1_T2_T3_T4_T5_T6_T7_T8_
		.amdhsa_group_segment_fixed_size 1072
		.amdhsa_private_segment_fixed_size 0
		.amdhsa_kernarg_size 252
		.amdhsa_user_sgpr_count 2
		.amdhsa_user_sgpr_dispatch_ptr 0
		.amdhsa_user_sgpr_queue_ptr 0
		.amdhsa_user_sgpr_kernarg_segment_ptr 1
		.amdhsa_user_sgpr_dispatch_id 0
		.amdhsa_user_sgpr_kernarg_preload_length 0
		.amdhsa_user_sgpr_kernarg_preload_offset 0
		.amdhsa_user_sgpr_private_segment_size 0
		.amdhsa_uses_dynamic_stack 0
		.amdhsa_enable_private_segment 0
		.amdhsa_system_sgpr_workgroup_id_x 1
		.amdhsa_system_sgpr_workgroup_id_y 0
		.amdhsa_system_sgpr_workgroup_id_z 0
		.amdhsa_system_sgpr_workgroup_info 0
		.amdhsa_system_vgpr_workitem_id 0
		.amdhsa_next_free_vgpr 53
		.amdhsa_next_free_sgpr 24
		.amdhsa_accum_offset 56
		.amdhsa_reserve_vcc 0
		.amdhsa_float_round_mode_32 0
		.amdhsa_float_round_mode_16_64 0
		.amdhsa_float_denorm_mode_32 3
		.amdhsa_float_denorm_mode_16_64 3
		.amdhsa_dx10_clamp 1
		.amdhsa_ieee_mode 1
		.amdhsa_fp16_overflow 0
		.amdhsa_tg_split 0
		.amdhsa_exception_fp_ieee_invalid_op 0
		.amdhsa_exception_fp_denorm_src 0
		.amdhsa_exception_fp_ieee_div_zero 0
		.amdhsa_exception_fp_ieee_overflow 0
		.amdhsa_exception_fp_ieee_underflow 0
		.amdhsa_exception_fp_ieee_inexact 0
		.amdhsa_exception_int_div_zero 0
	.end_amdhsa_kernel
	.section	.text._ZN2ck32kernel_gemm_xdlops_skip_b_lds_v1INS_48GridwiseGemm_k0mk1_k0nk1_mn_xdlops_skip_b_lds_v1ILi256EfffLNS_25InMemoryDataOperationEnumE0ENS_16TensorDescriptorINS_5TupleIJNS_5EmbedINS4_IJiiEEENS4_IJiNS_17integral_constantIiLi1EEEEEELb0EEENS_7UnMergeINS4_IJiNS7_IiLi4EEEEEELb0EEENS_11PassThroughIiEEEEENS4_IJNS_8SequenceIJLi0EEEENSI_IJLi2EEEENSI_IJLi1EEEEEEENS4_IJNSI_IJLi1ELi2EEEENSI_IJLi3ELi4EEEENSI_IJLi5EEEEEEENSI_IJLi3ELi5ELi4EEEElEENS3_INS4_IJNS5_IS6_NS4_IJS8_iEEELb0EEESE_SG_EEENS4_IJSJ_SL_SK_EEESQ_SR_lEENS3_INS4_IJSA_SG_SG_EEESW_NS4_IJSN_NSI_IJLi3EEEENSI_IJLi4EEEEEEESO_lEENS_16tensor_operation12element_wise11PassThroughES15_S15_Li16ELi128ELi4ELi16ELi16ELi4ELi1ELi2ENSI_IJLi16ELi16ELi1EEEENSI_IJLi1ELi0ELi2EEEES17_Li2ELi4ELi4ELb0ELb1ELi4ELb0ELi4ENSI_IJLi0ELi2ELi4ELi5ELi6ELi1ELi3ELi7EEEELi7ELi1EEEffSS_SX_S12_S15_S15_S15_NS_13TensorAdaptorINS4_IJNSB_IS6_Lb0EEES1B_NS_23Merge_v2_magic_divisionINS4_IJiiiiEEEEEEEENS4_IJSJ_SL_NSI_IJLi2ELi3ELi4ELi5EEEEEEENS4_IJNSI_IJLi2ELi4EEEENSI_IJLi3ELi5EEEENSI_IJLi6EEEEEEENSI_IJLi0ELi1EEEES1K_EELb0EEEvPKT0_S1Q_PT1_T2_T3_T4_T5_T6_T7_T8_,"axG",@progbits,_ZN2ck32kernel_gemm_xdlops_skip_b_lds_v1INS_48GridwiseGemm_k0mk1_k0nk1_mn_xdlops_skip_b_lds_v1ILi256EfffLNS_25InMemoryDataOperationEnumE0ENS_16TensorDescriptorINS_5TupleIJNS_5EmbedINS4_IJiiEEENS4_IJiNS_17integral_constantIiLi1EEEEEELb0EEENS_7UnMergeINS4_IJiNS7_IiLi4EEEEEELb0EEENS_11PassThroughIiEEEEENS4_IJNS_8SequenceIJLi0EEEENSI_IJLi2EEEENSI_IJLi1EEEEEEENS4_IJNSI_IJLi1ELi2EEEENSI_IJLi3ELi4EEEENSI_IJLi5EEEEEEENSI_IJLi3ELi5ELi4EEEElEENS3_INS4_IJNS5_IS6_NS4_IJS8_iEEELb0EEESE_SG_EEENS4_IJSJ_SL_SK_EEESQ_SR_lEENS3_INS4_IJSA_SG_SG_EEESW_NS4_IJSN_NSI_IJLi3EEEENSI_IJLi4EEEEEEESO_lEENS_16tensor_operation12element_wise11PassThroughES15_S15_Li16ELi128ELi4ELi16ELi16ELi4ELi1ELi2ENSI_IJLi16ELi16ELi1EEEENSI_IJLi1ELi0ELi2EEEES17_Li2ELi4ELi4ELb0ELb1ELi4ELb0ELi4ENSI_IJLi0ELi2ELi4ELi5ELi6ELi1ELi3ELi7EEEELi7ELi1EEEffSS_SX_S12_S15_S15_S15_NS_13TensorAdaptorINS4_IJNSB_IS6_Lb0EEES1B_NS_23Merge_v2_magic_divisionINS4_IJiiiiEEEEEEEENS4_IJSJ_SL_NSI_IJLi2ELi3ELi4ELi5EEEEEEENS4_IJNSI_IJLi2ELi4EEEENSI_IJLi3ELi5EEEENSI_IJLi6EEEEEEENSI_IJLi0ELi1EEEES1K_EELb0EEEvPKT0_S1Q_PT1_T2_T3_T4_T5_T6_T7_T8_,comdat
.Lfunc_end2:
	.size	_ZN2ck32kernel_gemm_xdlops_skip_b_lds_v1INS_48GridwiseGemm_k0mk1_k0nk1_mn_xdlops_skip_b_lds_v1ILi256EfffLNS_25InMemoryDataOperationEnumE0ENS_16TensorDescriptorINS_5TupleIJNS_5EmbedINS4_IJiiEEENS4_IJiNS_17integral_constantIiLi1EEEEEELb0EEENS_7UnMergeINS4_IJiNS7_IiLi4EEEEEELb0EEENS_11PassThroughIiEEEEENS4_IJNS_8SequenceIJLi0EEEENSI_IJLi2EEEENSI_IJLi1EEEEEEENS4_IJNSI_IJLi1ELi2EEEENSI_IJLi3ELi4EEEENSI_IJLi5EEEEEEENSI_IJLi3ELi5ELi4EEEElEENS3_INS4_IJNS5_IS6_NS4_IJS8_iEEELb0EEESE_SG_EEENS4_IJSJ_SL_SK_EEESQ_SR_lEENS3_INS4_IJSA_SG_SG_EEESW_NS4_IJSN_NSI_IJLi3EEEENSI_IJLi4EEEEEEESO_lEENS_16tensor_operation12element_wise11PassThroughES15_S15_Li16ELi128ELi4ELi16ELi16ELi4ELi1ELi2ENSI_IJLi16ELi16ELi1EEEENSI_IJLi1ELi0ELi2EEEES17_Li2ELi4ELi4ELb0ELb1ELi4ELb0ELi4ENSI_IJLi0ELi2ELi4ELi5ELi6ELi1ELi3ELi7EEEELi7ELi1EEEffSS_SX_S12_S15_S15_S15_NS_13TensorAdaptorINS4_IJNSB_IS6_Lb0EEES1B_NS_23Merge_v2_magic_divisionINS4_IJiiiiEEEEEEEENS4_IJSJ_SL_NSI_IJLi2ELi3ELi4ELi5EEEEEEENS4_IJNSI_IJLi2ELi4EEEENSI_IJLi3ELi5EEEENSI_IJLi6EEEEEEENSI_IJLi0ELi1EEEES1K_EELb0EEEvPKT0_S1Q_PT1_T2_T3_T4_T5_T6_T7_T8_, .Lfunc_end2-_ZN2ck32kernel_gemm_xdlops_skip_b_lds_v1INS_48GridwiseGemm_k0mk1_k0nk1_mn_xdlops_skip_b_lds_v1ILi256EfffLNS_25InMemoryDataOperationEnumE0ENS_16TensorDescriptorINS_5TupleIJNS_5EmbedINS4_IJiiEEENS4_IJiNS_17integral_constantIiLi1EEEEEELb0EEENS_7UnMergeINS4_IJiNS7_IiLi4EEEEEELb0EEENS_11PassThroughIiEEEEENS4_IJNS_8SequenceIJLi0EEEENSI_IJLi2EEEENSI_IJLi1EEEEEEENS4_IJNSI_IJLi1ELi2EEEENSI_IJLi3ELi4EEEENSI_IJLi5EEEEEEENSI_IJLi3ELi5ELi4EEEElEENS3_INS4_IJNS5_IS6_NS4_IJS8_iEEELb0EEESE_SG_EEENS4_IJSJ_SL_SK_EEESQ_SR_lEENS3_INS4_IJSA_SG_SG_EEESW_NS4_IJSN_NSI_IJLi3EEEENSI_IJLi4EEEEEEESO_lEENS_16tensor_operation12element_wise11PassThroughES15_S15_Li16ELi128ELi4ELi16ELi16ELi4ELi1ELi2ENSI_IJLi16ELi16ELi1EEEENSI_IJLi1ELi0ELi2EEEES17_Li2ELi4ELi4ELb0ELb1ELi4ELb0ELi4ENSI_IJLi0ELi2ELi4ELi5ELi6ELi1ELi3ELi7EEEELi7ELi1EEEffSS_SX_S12_S15_S15_S15_NS_13TensorAdaptorINS4_IJNSB_IS6_Lb0EEES1B_NS_23Merge_v2_magic_divisionINS4_IJiiiiEEEEEEEENS4_IJSJ_SL_NSI_IJLi2ELi3ELi4ELi5EEEEEEENS4_IJNSI_IJLi2ELi4EEEENSI_IJLi3ELi5EEEENSI_IJLi6EEEEEEENSI_IJLi0ELi1EEEES1K_EELb0EEEvPKT0_S1Q_PT1_T2_T3_T4_T5_T6_T7_T8_
                                        ; -- End function
	.set _ZN2ck32kernel_gemm_xdlops_skip_b_lds_v1INS_48GridwiseGemm_k0mk1_k0nk1_mn_xdlops_skip_b_lds_v1ILi256EfffLNS_25InMemoryDataOperationEnumE0ENS_16TensorDescriptorINS_5TupleIJNS_5EmbedINS4_IJiiEEENS4_IJiNS_17integral_constantIiLi1EEEEEELb0EEENS_7UnMergeINS4_IJiNS7_IiLi4EEEEEELb0EEENS_11PassThroughIiEEEEENS4_IJNS_8SequenceIJLi0EEEENSI_IJLi2EEEENSI_IJLi1EEEEEEENS4_IJNSI_IJLi1ELi2EEEENSI_IJLi3ELi4EEEENSI_IJLi5EEEEEEENSI_IJLi3ELi5ELi4EEEElEENS3_INS4_IJNS5_IS6_NS4_IJS8_iEEELb0EEESE_SG_EEENS4_IJSJ_SL_SK_EEESQ_SR_lEENS3_INS4_IJSA_SG_SG_EEESW_NS4_IJSN_NSI_IJLi3EEEENSI_IJLi4EEEEEEESO_lEENS_16tensor_operation12element_wise11PassThroughES15_S15_Li16ELi128ELi4ELi16ELi16ELi4ELi1ELi2ENSI_IJLi16ELi16ELi1EEEENSI_IJLi1ELi0ELi2EEEES17_Li2ELi4ELi4ELb0ELb1ELi4ELb0ELi4ENSI_IJLi0ELi2ELi4ELi5ELi6ELi1ELi3ELi7EEEELi7ELi1EEEffSS_SX_S12_S15_S15_S15_NS_13TensorAdaptorINS4_IJNSB_IS6_Lb0EEES1B_NS_23Merge_v2_magic_divisionINS4_IJiiiiEEEEEEEENS4_IJSJ_SL_NSI_IJLi2ELi3ELi4ELi5EEEEEEENS4_IJNSI_IJLi2ELi4EEEENSI_IJLi3ELi5EEEENSI_IJLi6EEEEEEENSI_IJLi0ELi1EEEES1K_EELb0EEEvPKT0_S1Q_PT1_T2_T3_T4_T5_T6_T7_T8_.num_vgpr, 53
	.set _ZN2ck32kernel_gemm_xdlops_skip_b_lds_v1INS_48GridwiseGemm_k0mk1_k0nk1_mn_xdlops_skip_b_lds_v1ILi256EfffLNS_25InMemoryDataOperationEnumE0ENS_16TensorDescriptorINS_5TupleIJNS_5EmbedINS4_IJiiEEENS4_IJiNS_17integral_constantIiLi1EEEEEELb0EEENS_7UnMergeINS4_IJiNS7_IiLi4EEEEEELb0EEENS_11PassThroughIiEEEEENS4_IJNS_8SequenceIJLi0EEEENSI_IJLi2EEEENSI_IJLi1EEEEEEENS4_IJNSI_IJLi1ELi2EEEENSI_IJLi3ELi4EEEENSI_IJLi5EEEEEEENSI_IJLi3ELi5ELi4EEEElEENS3_INS4_IJNS5_IS6_NS4_IJS8_iEEELb0EEESE_SG_EEENS4_IJSJ_SL_SK_EEESQ_SR_lEENS3_INS4_IJSA_SG_SG_EEESW_NS4_IJSN_NSI_IJLi3EEEENSI_IJLi4EEEEEEESO_lEENS_16tensor_operation12element_wise11PassThroughES15_S15_Li16ELi128ELi4ELi16ELi16ELi4ELi1ELi2ENSI_IJLi16ELi16ELi1EEEENSI_IJLi1ELi0ELi2EEEES17_Li2ELi4ELi4ELb0ELb1ELi4ELb0ELi4ENSI_IJLi0ELi2ELi4ELi5ELi6ELi1ELi3ELi7EEEELi7ELi1EEEffSS_SX_S12_S15_S15_S15_NS_13TensorAdaptorINS4_IJNSB_IS6_Lb0EEES1B_NS_23Merge_v2_magic_divisionINS4_IJiiiiEEEEEEEENS4_IJSJ_SL_NSI_IJLi2ELi3ELi4ELi5EEEEEEENS4_IJNSI_IJLi2ELi4EEEENSI_IJLi3ELi5EEEENSI_IJLi6EEEEEEENSI_IJLi0ELi1EEEES1K_EELb0EEEvPKT0_S1Q_PT1_T2_T3_T4_T5_T6_T7_T8_.num_agpr, 0
	.set _ZN2ck32kernel_gemm_xdlops_skip_b_lds_v1INS_48GridwiseGemm_k0mk1_k0nk1_mn_xdlops_skip_b_lds_v1ILi256EfffLNS_25InMemoryDataOperationEnumE0ENS_16TensorDescriptorINS_5TupleIJNS_5EmbedINS4_IJiiEEENS4_IJiNS_17integral_constantIiLi1EEEEEELb0EEENS_7UnMergeINS4_IJiNS7_IiLi4EEEEEELb0EEENS_11PassThroughIiEEEEENS4_IJNS_8SequenceIJLi0EEEENSI_IJLi2EEEENSI_IJLi1EEEEEEENS4_IJNSI_IJLi1ELi2EEEENSI_IJLi3ELi4EEEENSI_IJLi5EEEEEEENSI_IJLi3ELi5ELi4EEEElEENS3_INS4_IJNS5_IS6_NS4_IJS8_iEEELb0EEESE_SG_EEENS4_IJSJ_SL_SK_EEESQ_SR_lEENS3_INS4_IJSA_SG_SG_EEESW_NS4_IJSN_NSI_IJLi3EEEENSI_IJLi4EEEEEEESO_lEENS_16tensor_operation12element_wise11PassThroughES15_S15_Li16ELi128ELi4ELi16ELi16ELi4ELi1ELi2ENSI_IJLi16ELi16ELi1EEEENSI_IJLi1ELi0ELi2EEEES17_Li2ELi4ELi4ELb0ELb1ELi4ELb0ELi4ENSI_IJLi0ELi2ELi4ELi5ELi6ELi1ELi3ELi7EEEELi7ELi1EEEffSS_SX_S12_S15_S15_S15_NS_13TensorAdaptorINS4_IJNSB_IS6_Lb0EEES1B_NS_23Merge_v2_magic_divisionINS4_IJiiiiEEEEEEEENS4_IJSJ_SL_NSI_IJLi2ELi3ELi4ELi5EEEEEEENS4_IJNSI_IJLi2ELi4EEEENSI_IJLi3ELi5EEEENSI_IJLi6EEEEEEENSI_IJLi0ELi1EEEES1K_EELb0EEEvPKT0_S1Q_PT1_T2_T3_T4_T5_T6_T7_T8_.numbered_sgpr, 24
	.set _ZN2ck32kernel_gemm_xdlops_skip_b_lds_v1INS_48GridwiseGemm_k0mk1_k0nk1_mn_xdlops_skip_b_lds_v1ILi256EfffLNS_25InMemoryDataOperationEnumE0ENS_16TensorDescriptorINS_5TupleIJNS_5EmbedINS4_IJiiEEENS4_IJiNS_17integral_constantIiLi1EEEEEELb0EEENS_7UnMergeINS4_IJiNS7_IiLi4EEEEEELb0EEENS_11PassThroughIiEEEEENS4_IJNS_8SequenceIJLi0EEEENSI_IJLi2EEEENSI_IJLi1EEEEEEENS4_IJNSI_IJLi1ELi2EEEENSI_IJLi3ELi4EEEENSI_IJLi5EEEEEEENSI_IJLi3ELi5ELi4EEEElEENS3_INS4_IJNS5_IS6_NS4_IJS8_iEEELb0EEESE_SG_EEENS4_IJSJ_SL_SK_EEESQ_SR_lEENS3_INS4_IJSA_SG_SG_EEESW_NS4_IJSN_NSI_IJLi3EEEENSI_IJLi4EEEEEEESO_lEENS_16tensor_operation12element_wise11PassThroughES15_S15_Li16ELi128ELi4ELi16ELi16ELi4ELi1ELi2ENSI_IJLi16ELi16ELi1EEEENSI_IJLi1ELi0ELi2EEEES17_Li2ELi4ELi4ELb0ELb1ELi4ELb0ELi4ENSI_IJLi0ELi2ELi4ELi5ELi6ELi1ELi3ELi7EEEELi7ELi1EEEffSS_SX_S12_S15_S15_S15_NS_13TensorAdaptorINS4_IJNSB_IS6_Lb0EEES1B_NS_23Merge_v2_magic_divisionINS4_IJiiiiEEEEEEEENS4_IJSJ_SL_NSI_IJLi2ELi3ELi4ELi5EEEEEEENS4_IJNSI_IJLi2ELi4EEEENSI_IJLi3ELi5EEEENSI_IJLi6EEEEEEENSI_IJLi0ELi1EEEES1K_EELb0EEEvPKT0_S1Q_PT1_T2_T3_T4_T5_T6_T7_T8_.num_named_barrier, 0
	.set _ZN2ck32kernel_gemm_xdlops_skip_b_lds_v1INS_48GridwiseGemm_k0mk1_k0nk1_mn_xdlops_skip_b_lds_v1ILi256EfffLNS_25InMemoryDataOperationEnumE0ENS_16TensorDescriptorINS_5TupleIJNS_5EmbedINS4_IJiiEEENS4_IJiNS_17integral_constantIiLi1EEEEEELb0EEENS_7UnMergeINS4_IJiNS7_IiLi4EEEEEELb0EEENS_11PassThroughIiEEEEENS4_IJNS_8SequenceIJLi0EEEENSI_IJLi2EEEENSI_IJLi1EEEEEEENS4_IJNSI_IJLi1ELi2EEEENSI_IJLi3ELi4EEEENSI_IJLi5EEEEEEENSI_IJLi3ELi5ELi4EEEElEENS3_INS4_IJNS5_IS6_NS4_IJS8_iEEELb0EEESE_SG_EEENS4_IJSJ_SL_SK_EEESQ_SR_lEENS3_INS4_IJSA_SG_SG_EEESW_NS4_IJSN_NSI_IJLi3EEEENSI_IJLi4EEEEEEESO_lEENS_16tensor_operation12element_wise11PassThroughES15_S15_Li16ELi128ELi4ELi16ELi16ELi4ELi1ELi2ENSI_IJLi16ELi16ELi1EEEENSI_IJLi1ELi0ELi2EEEES17_Li2ELi4ELi4ELb0ELb1ELi4ELb0ELi4ENSI_IJLi0ELi2ELi4ELi5ELi6ELi1ELi3ELi7EEEELi7ELi1EEEffSS_SX_S12_S15_S15_S15_NS_13TensorAdaptorINS4_IJNSB_IS6_Lb0EEES1B_NS_23Merge_v2_magic_divisionINS4_IJiiiiEEEEEEEENS4_IJSJ_SL_NSI_IJLi2ELi3ELi4ELi5EEEEEEENS4_IJNSI_IJLi2ELi4EEEENSI_IJLi3ELi5EEEENSI_IJLi6EEEEEEENSI_IJLi0ELi1EEEES1K_EELb0EEEvPKT0_S1Q_PT1_T2_T3_T4_T5_T6_T7_T8_.private_seg_size, 0
	.set _ZN2ck32kernel_gemm_xdlops_skip_b_lds_v1INS_48GridwiseGemm_k0mk1_k0nk1_mn_xdlops_skip_b_lds_v1ILi256EfffLNS_25InMemoryDataOperationEnumE0ENS_16TensorDescriptorINS_5TupleIJNS_5EmbedINS4_IJiiEEENS4_IJiNS_17integral_constantIiLi1EEEEEELb0EEENS_7UnMergeINS4_IJiNS7_IiLi4EEEEEELb0EEENS_11PassThroughIiEEEEENS4_IJNS_8SequenceIJLi0EEEENSI_IJLi2EEEENSI_IJLi1EEEEEEENS4_IJNSI_IJLi1ELi2EEEENSI_IJLi3ELi4EEEENSI_IJLi5EEEEEEENSI_IJLi3ELi5ELi4EEEElEENS3_INS4_IJNS5_IS6_NS4_IJS8_iEEELb0EEESE_SG_EEENS4_IJSJ_SL_SK_EEESQ_SR_lEENS3_INS4_IJSA_SG_SG_EEESW_NS4_IJSN_NSI_IJLi3EEEENSI_IJLi4EEEEEEESO_lEENS_16tensor_operation12element_wise11PassThroughES15_S15_Li16ELi128ELi4ELi16ELi16ELi4ELi1ELi2ENSI_IJLi16ELi16ELi1EEEENSI_IJLi1ELi0ELi2EEEES17_Li2ELi4ELi4ELb0ELb1ELi4ELb0ELi4ENSI_IJLi0ELi2ELi4ELi5ELi6ELi1ELi3ELi7EEEELi7ELi1EEEffSS_SX_S12_S15_S15_S15_NS_13TensorAdaptorINS4_IJNSB_IS6_Lb0EEES1B_NS_23Merge_v2_magic_divisionINS4_IJiiiiEEEEEEEENS4_IJSJ_SL_NSI_IJLi2ELi3ELi4ELi5EEEEEEENS4_IJNSI_IJLi2ELi4EEEENSI_IJLi3ELi5EEEENSI_IJLi6EEEEEEENSI_IJLi0ELi1EEEES1K_EELb0EEEvPKT0_S1Q_PT1_T2_T3_T4_T5_T6_T7_T8_.uses_vcc, 0
	.set _ZN2ck32kernel_gemm_xdlops_skip_b_lds_v1INS_48GridwiseGemm_k0mk1_k0nk1_mn_xdlops_skip_b_lds_v1ILi256EfffLNS_25InMemoryDataOperationEnumE0ENS_16TensorDescriptorINS_5TupleIJNS_5EmbedINS4_IJiiEEENS4_IJiNS_17integral_constantIiLi1EEEEEELb0EEENS_7UnMergeINS4_IJiNS7_IiLi4EEEEEELb0EEENS_11PassThroughIiEEEEENS4_IJNS_8SequenceIJLi0EEEENSI_IJLi2EEEENSI_IJLi1EEEEEEENS4_IJNSI_IJLi1ELi2EEEENSI_IJLi3ELi4EEEENSI_IJLi5EEEEEEENSI_IJLi3ELi5ELi4EEEElEENS3_INS4_IJNS5_IS6_NS4_IJS8_iEEELb0EEESE_SG_EEENS4_IJSJ_SL_SK_EEESQ_SR_lEENS3_INS4_IJSA_SG_SG_EEESW_NS4_IJSN_NSI_IJLi3EEEENSI_IJLi4EEEEEEESO_lEENS_16tensor_operation12element_wise11PassThroughES15_S15_Li16ELi128ELi4ELi16ELi16ELi4ELi1ELi2ENSI_IJLi16ELi16ELi1EEEENSI_IJLi1ELi0ELi2EEEES17_Li2ELi4ELi4ELb0ELb1ELi4ELb0ELi4ENSI_IJLi0ELi2ELi4ELi5ELi6ELi1ELi3ELi7EEEELi7ELi1EEEffSS_SX_S12_S15_S15_S15_NS_13TensorAdaptorINS4_IJNSB_IS6_Lb0EEES1B_NS_23Merge_v2_magic_divisionINS4_IJiiiiEEEEEEEENS4_IJSJ_SL_NSI_IJLi2ELi3ELi4ELi5EEEEEEENS4_IJNSI_IJLi2ELi4EEEENSI_IJLi3ELi5EEEENSI_IJLi6EEEEEEENSI_IJLi0ELi1EEEES1K_EELb0EEEvPKT0_S1Q_PT1_T2_T3_T4_T5_T6_T7_T8_.uses_flat_scratch, 0
	.set _ZN2ck32kernel_gemm_xdlops_skip_b_lds_v1INS_48GridwiseGemm_k0mk1_k0nk1_mn_xdlops_skip_b_lds_v1ILi256EfffLNS_25InMemoryDataOperationEnumE0ENS_16TensorDescriptorINS_5TupleIJNS_5EmbedINS4_IJiiEEENS4_IJiNS_17integral_constantIiLi1EEEEEELb0EEENS_7UnMergeINS4_IJiNS7_IiLi4EEEEEELb0EEENS_11PassThroughIiEEEEENS4_IJNS_8SequenceIJLi0EEEENSI_IJLi2EEEENSI_IJLi1EEEEEEENS4_IJNSI_IJLi1ELi2EEEENSI_IJLi3ELi4EEEENSI_IJLi5EEEEEEENSI_IJLi3ELi5ELi4EEEElEENS3_INS4_IJNS5_IS6_NS4_IJS8_iEEELb0EEESE_SG_EEENS4_IJSJ_SL_SK_EEESQ_SR_lEENS3_INS4_IJSA_SG_SG_EEESW_NS4_IJSN_NSI_IJLi3EEEENSI_IJLi4EEEEEEESO_lEENS_16tensor_operation12element_wise11PassThroughES15_S15_Li16ELi128ELi4ELi16ELi16ELi4ELi1ELi2ENSI_IJLi16ELi16ELi1EEEENSI_IJLi1ELi0ELi2EEEES17_Li2ELi4ELi4ELb0ELb1ELi4ELb0ELi4ENSI_IJLi0ELi2ELi4ELi5ELi6ELi1ELi3ELi7EEEELi7ELi1EEEffSS_SX_S12_S15_S15_S15_NS_13TensorAdaptorINS4_IJNSB_IS6_Lb0EEES1B_NS_23Merge_v2_magic_divisionINS4_IJiiiiEEEEEEEENS4_IJSJ_SL_NSI_IJLi2ELi3ELi4ELi5EEEEEEENS4_IJNSI_IJLi2ELi4EEEENSI_IJLi3ELi5EEEENSI_IJLi6EEEEEEENSI_IJLi0ELi1EEEES1K_EELb0EEEvPKT0_S1Q_PT1_T2_T3_T4_T5_T6_T7_T8_.has_dyn_sized_stack, 0
	.set _ZN2ck32kernel_gemm_xdlops_skip_b_lds_v1INS_48GridwiseGemm_k0mk1_k0nk1_mn_xdlops_skip_b_lds_v1ILi256EfffLNS_25InMemoryDataOperationEnumE0ENS_16TensorDescriptorINS_5TupleIJNS_5EmbedINS4_IJiiEEENS4_IJiNS_17integral_constantIiLi1EEEEEELb0EEENS_7UnMergeINS4_IJiNS7_IiLi4EEEEEELb0EEENS_11PassThroughIiEEEEENS4_IJNS_8SequenceIJLi0EEEENSI_IJLi2EEEENSI_IJLi1EEEEEEENS4_IJNSI_IJLi1ELi2EEEENSI_IJLi3ELi4EEEENSI_IJLi5EEEEEEENSI_IJLi3ELi5ELi4EEEElEENS3_INS4_IJNS5_IS6_NS4_IJS8_iEEELb0EEESE_SG_EEENS4_IJSJ_SL_SK_EEESQ_SR_lEENS3_INS4_IJSA_SG_SG_EEESW_NS4_IJSN_NSI_IJLi3EEEENSI_IJLi4EEEEEEESO_lEENS_16tensor_operation12element_wise11PassThroughES15_S15_Li16ELi128ELi4ELi16ELi16ELi4ELi1ELi2ENSI_IJLi16ELi16ELi1EEEENSI_IJLi1ELi0ELi2EEEES17_Li2ELi4ELi4ELb0ELb1ELi4ELb0ELi4ENSI_IJLi0ELi2ELi4ELi5ELi6ELi1ELi3ELi7EEEELi7ELi1EEEffSS_SX_S12_S15_S15_S15_NS_13TensorAdaptorINS4_IJNSB_IS6_Lb0EEES1B_NS_23Merge_v2_magic_divisionINS4_IJiiiiEEEEEEEENS4_IJSJ_SL_NSI_IJLi2ELi3ELi4ELi5EEEEEEENS4_IJNSI_IJLi2ELi4EEEENSI_IJLi3ELi5EEEENSI_IJLi6EEEEEEENSI_IJLi0ELi1EEEES1K_EELb0EEEvPKT0_S1Q_PT1_T2_T3_T4_T5_T6_T7_T8_.has_recursion, 0
	.set _ZN2ck32kernel_gemm_xdlops_skip_b_lds_v1INS_48GridwiseGemm_k0mk1_k0nk1_mn_xdlops_skip_b_lds_v1ILi256EfffLNS_25InMemoryDataOperationEnumE0ENS_16TensorDescriptorINS_5TupleIJNS_5EmbedINS4_IJiiEEENS4_IJiNS_17integral_constantIiLi1EEEEEELb0EEENS_7UnMergeINS4_IJiNS7_IiLi4EEEEEELb0EEENS_11PassThroughIiEEEEENS4_IJNS_8SequenceIJLi0EEEENSI_IJLi2EEEENSI_IJLi1EEEEEEENS4_IJNSI_IJLi1ELi2EEEENSI_IJLi3ELi4EEEENSI_IJLi5EEEEEEENSI_IJLi3ELi5ELi4EEEElEENS3_INS4_IJNS5_IS6_NS4_IJS8_iEEELb0EEESE_SG_EEENS4_IJSJ_SL_SK_EEESQ_SR_lEENS3_INS4_IJSA_SG_SG_EEESW_NS4_IJSN_NSI_IJLi3EEEENSI_IJLi4EEEEEEESO_lEENS_16tensor_operation12element_wise11PassThroughES15_S15_Li16ELi128ELi4ELi16ELi16ELi4ELi1ELi2ENSI_IJLi16ELi16ELi1EEEENSI_IJLi1ELi0ELi2EEEES17_Li2ELi4ELi4ELb0ELb1ELi4ELb0ELi4ENSI_IJLi0ELi2ELi4ELi5ELi6ELi1ELi3ELi7EEEELi7ELi1EEEffSS_SX_S12_S15_S15_S15_NS_13TensorAdaptorINS4_IJNSB_IS6_Lb0EEES1B_NS_23Merge_v2_magic_divisionINS4_IJiiiiEEEEEEEENS4_IJSJ_SL_NSI_IJLi2ELi3ELi4ELi5EEEEEEENS4_IJNSI_IJLi2ELi4EEEENSI_IJLi3ELi5EEEENSI_IJLi6EEEEEEENSI_IJLi0ELi1EEEES1K_EELb0EEEvPKT0_S1Q_PT1_T2_T3_T4_T5_T6_T7_T8_.has_indirect_call, 0
	.section	.AMDGPU.csdata,"",@progbits
; Kernel info:
; codeLenInByte = 1208
; TotalNumSgprs: 30
; NumVgprs: 53
; NumAgprs: 0
; TotalNumVgprs: 53
; ScratchSize: 0
; MemoryBound: 0
; FloatMode: 240
; IeeeMode: 1
; LDSByteSize: 1072 bytes/workgroup (compile time only)
; SGPRBlocks: 3
; VGPRBlocks: 6
; NumSGPRsForWavesPerEU: 30
; NumVGPRsForWavesPerEU: 53
; AccumOffset: 56
; Occupancy: 8
; WaveLimiterHint : 0
; COMPUTE_PGM_RSRC2:SCRATCH_EN: 0
; COMPUTE_PGM_RSRC2:USER_SGPR: 2
; COMPUTE_PGM_RSRC2:TRAP_HANDLER: 0
; COMPUTE_PGM_RSRC2:TGID_X_EN: 1
; COMPUTE_PGM_RSRC2:TGID_Y_EN: 0
; COMPUTE_PGM_RSRC2:TGID_Z_EN: 0
; COMPUTE_PGM_RSRC2:TIDIG_COMP_CNT: 0
; COMPUTE_PGM_RSRC3_GFX90A:ACCUM_OFFSET: 13
; COMPUTE_PGM_RSRC3_GFX90A:TG_SPLIT: 0
	.section	.text._ZN2ck32kernel_gemm_xdlops_skip_b_lds_v1INS_48GridwiseGemm_k0mk1_k0nk1_mn_xdlops_skip_b_lds_v1ILi256EfffLNS_25InMemoryDataOperationEnumE0ENS_16TensorDescriptorINS_5TupleIJNS_5EmbedINS4_IJiiEEENS4_IJiNS_17integral_constantIiLi1EEEEEELb0EEENS_7UnMergeINS4_IJiNS7_IiLi4EEEEEELb0EEENS_11PassThroughIiEEEEENS4_IJNS_8SequenceIJLi0EEEENSI_IJLi2EEEENSI_IJLi1EEEEEEENS4_IJNSI_IJLi1ELi2EEEENSI_IJLi3ELi4EEEENSI_IJLi5EEEEEEENSI_IJLi3ELi5ELi4EEEElEENS3_INS4_IJNS5_IS6_NS4_IJS8_iEEELb0EEESE_SG_EEENS4_IJSJ_SL_SK_EEESQ_SR_lEENS3_INS4_IJSA_SG_SG_EEESW_NS4_IJSN_NSI_IJLi3EEEENSI_IJLi4EEEEEEESO_lEENS_16tensor_operation12element_wise11PassThroughES15_S15_Li16ELi128ELi4ELi16ELi16ELi4ELi1ELi1ENSI_IJLi16ELi16ELi1EEEENSI_IJLi1ELi0ELi2EEEES17_Li2ELi4ELi4ELb0ELb1ELi4ELb0ELi4ENSI_IJLi0ELi2ELi4ELi5ELi6ELi1ELi3ELi7EEEELi7ELi1EEEffSS_SX_S12_S15_S15_S15_NS_13TensorAdaptorINS4_IJNSB_IS6_Lb0EEES1B_NS_23Merge_v2_magic_divisionINS4_IJiiiiEEEEEEEENS4_IJSJ_SL_NSI_IJLi2ELi3ELi4ELi5EEEEEEENS4_IJNSI_IJLi2ELi4EEEENSI_IJLi3ELi5EEEENSI_IJLi6EEEEEEENSI_IJLi0ELi1EEEES1K_EELb1EEEvPKT0_S1Q_PT1_T2_T3_T4_T5_T6_T7_T8_,"axG",@progbits,_ZN2ck32kernel_gemm_xdlops_skip_b_lds_v1INS_48GridwiseGemm_k0mk1_k0nk1_mn_xdlops_skip_b_lds_v1ILi256EfffLNS_25InMemoryDataOperationEnumE0ENS_16TensorDescriptorINS_5TupleIJNS_5EmbedINS4_IJiiEEENS4_IJiNS_17integral_constantIiLi1EEEEEELb0EEENS_7UnMergeINS4_IJiNS7_IiLi4EEEEEELb0EEENS_11PassThroughIiEEEEENS4_IJNS_8SequenceIJLi0EEEENSI_IJLi2EEEENSI_IJLi1EEEEEEENS4_IJNSI_IJLi1ELi2EEEENSI_IJLi3ELi4EEEENSI_IJLi5EEEEEEENSI_IJLi3ELi5ELi4EEEElEENS3_INS4_IJNS5_IS6_NS4_IJS8_iEEELb0EEESE_SG_EEENS4_IJSJ_SL_SK_EEESQ_SR_lEENS3_INS4_IJSA_SG_SG_EEESW_NS4_IJSN_NSI_IJLi3EEEENSI_IJLi4EEEEEEESO_lEENS_16tensor_operation12element_wise11PassThroughES15_S15_Li16ELi128ELi4ELi16ELi16ELi4ELi1ELi1ENSI_IJLi16ELi16ELi1EEEENSI_IJLi1ELi0ELi2EEEES17_Li2ELi4ELi4ELb0ELb1ELi4ELb0ELi4ENSI_IJLi0ELi2ELi4ELi5ELi6ELi1ELi3ELi7EEEELi7ELi1EEEffSS_SX_S12_S15_S15_S15_NS_13TensorAdaptorINS4_IJNSB_IS6_Lb0EEES1B_NS_23Merge_v2_magic_divisionINS4_IJiiiiEEEEEEEENS4_IJSJ_SL_NSI_IJLi2ELi3ELi4ELi5EEEEEEENS4_IJNSI_IJLi2ELi4EEEENSI_IJLi3ELi5EEEENSI_IJLi6EEEEEEENSI_IJLi0ELi1EEEES1K_EELb1EEEvPKT0_S1Q_PT1_T2_T3_T4_T5_T6_T7_T8_,comdat
	.protected	_ZN2ck32kernel_gemm_xdlops_skip_b_lds_v1INS_48GridwiseGemm_k0mk1_k0nk1_mn_xdlops_skip_b_lds_v1ILi256EfffLNS_25InMemoryDataOperationEnumE0ENS_16TensorDescriptorINS_5TupleIJNS_5EmbedINS4_IJiiEEENS4_IJiNS_17integral_constantIiLi1EEEEEELb0EEENS_7UnMergeINS4_IJiNS7_IiLi4EEEEEELb0EEENS_11PassThroughIiEEEEENS4_IJNS_8SequenceIJLi0EEEENSI_IJLi2EEEENSI_IJLi1EEEEEEENS4_IJNSI_IJLi1ELi2EEEENSI_IJLi3ELi4EEEENSI_IJLi5EEEEEEENSI_IJLi3ELi5ELi4EEEElEENS3_INS4_IJNS5_IS6_NS4_IJS8_iEEELb0EEESE_SG_EEENS4_IJSJ_SL_SK_EEESQ_SR_lEENS3_INS4_IJSA_SG_SG_EEESW_NS4_IJSN_NSI_IJLi3EEEENSI_IJLi4EEEEEEESO_lEENS_16tensor_operation12element_wise11PassThroughES15_S15_Li16ELi128ELi4ELi16ELi16ELi4ELi1ELi1ENSI_IJLi16ELi16ELi1EEEENSI_IJLi1ELi0ELi2EEEES17_Li2ELi4ELi4ELb0ELb1ELi4ELb0ELi4ENSI_IJLi0ELi2ELi4ELi5ELi6ELi1ELi3ELi7EEEELi7ELi1EEEffSS_SX_S12_S15_S15_S15_NS_13TensorAdaptorINS4_IJNSB_IS6_Lb0EEES1B_NS_23Merge_v2_magic_divisionINS4_IJiiiiEEEEEEEENS4_IJSJ_SL_NSI_IJLi2ELi3ELi4ELi5EEEEEEENS4_IJNSI_IJLi2ELi4EEEENSI_IJLi3ELi5EEEENSI_IJLi6EEEEEEENSI_IJLi0ELi1EEEES1K_EELb1EEEvPKT0_S1Q_PT1_T2_T3_T4_T5_T6_T7_T8_ ; -- Begin function _ZN2ck32kernel_gemm_xdlops_skip_b_lds_v1INS_48GridwiseGemm_k0mk1_k0nk1_mn_xdlops_skip_b_lds_v1ILi256EfffLNS_25InMemoryDataOperationEnumE0ENS_16TensorDescriptorINS_5TupleIJNS_5EmbedINS4_IJiiEEENS4_IJiNS_17integral_constantIiLi1EEEEEELb0EEENS_7UnMergeINS4_IJiNS7_IiLi4EEEEEELb0EEENS_11PassThroughIiEEEEENS4_IJNS_8SequenceIJLi0EEEENSI_IJLi2EEEENSI_IJLi1EEEEEEENS4_IJNSI_IJLi1ELi2EEEENSI_IJLi3ELi4EEEENSI_IJLi5EEEEEEENSI_IJLi3ELi5ELi4EEEElEENS3_INS4_IJNS5_IS6_NS4_IJS8_iEEELb0EEESE_SG_EEENS4_IJSJ_SL_SK_EEESQ_SR_lEENS3_INS4_IJSA_SG_SG_EEESW_NS4_IJSN_NSI_IJLi3EEEENSI_IJLi4EEEEEEESO_lEENS_16tensor_operation12element_wise11PassThroughES15_S15_Li16ELi128ELi4ELi16ELi16ELi4ELi1ELi1ENSI_IJLi16ELi16ELi1EEEENSI_IJLi1ELi0ELi2EEEES17_Li2ELi4ELi4ELb0ELb1ELi4ELb0ELi4ENSI_IJLi0ELi2ELi4ELi5ELi6ELi1ELi3ELi7EEEELi7ELi1EEEffSS_SX_S12_S15_S15_S15_NS_13TensorAdaptorINS4_IJNSB_IS6_Lb0EEES1B_NS_23Merge_v2_magic_divisionINS4_IJiiiiEEEEEEEENS4_IJSJ_SL_NSI_IJLi2ELi3ELi4ELi5EEEEEEENS4_IJNSI_IJLi2ELi4EEEENSI_IJLi3ELi5EEEENSI_IJLi6EEEEEEENSI_IJLi0ELi1EEEES1K_EELb1EEEvPKT0_S1Q_PT1_T2_T3_T4_T5_T6_T7_T8_
	.globl	_ZN2ck32kernel_gemm_xdlops_skip_b_lds_v1INS_48GridwiseGemm_k0mk1_k0nk1_mn_xdlops_skip_b_lds_v1ILi256EfffLNS_25InMemoryDataOperationEnumE0ENS_16TensorDescriptorINS_5TupleIJNS_5EmbedINS4_IJiiEEENS4_IJiNS_17integral_constantIiLi1EEEEEELb0EEENS_7UnMergeINS4_IJiNS7_IiLi4EEEEEELb0EEENS_11PassThroughIiEEEEENS4_IJNS_8SequenceIJLi0EEEENSI_IJLi2EEEENSI_IJLi1EEEEEEENS4_IJNSI_IJLi1ELi2EEEENSI_IJLi3ELi4EEEENSI_IJLi5EEEEEEENSI_IJLi3ELi5ELi4EEEElEENS3_INS4_IJNS5_IS6_NS4_IJS8_iEEELb0EEESE_SG_EEENS4_IJSJ_SL_SK_EEESQ_SR_lEENS3_INS4_IJSA_SG_SG_EEESW_NS4_IJSN_NSI_IJLi3EEEENSI_IJLi4EEEEEEESO_lEENS_16tensor_operation12element_wise11PassThroughES15_S15_Li16ELi128ELi4ELi16ELi16ELi4ELi1ELi1ENSI_IJLi16ELi16ELi1EEEENSI_IJLi1ELi0ELi2EEEES17_Li2ELi4ELi4ELb0ELb1ELi4ELb0ELi4ENSI_IJLi0ELi2ELi4ELi5ELi6ELi1ELi3ELi7EEEELi7ELi1EEEffSS_SX_S12_S15_S15_S15_NS_13TensorAdaptorINS4_IJNSB_IS6_Lb0EEES1B_NS_23Merge_v2_magic_divisionINS4_IJiiiiEEEEEEEENS4_IJSJ_SL_NSI_IJLi2ELi3ELi4ELi5EEEEEEENS4_IJNSI_IJLi2ELi4EEEENSI_IJLi3ELi5EEEENSI_IJLi6EEEEEEENSI_IJLi0ELi1EEEES1K_EELb1EEEvPKT0_S1Q_PT1_T2_T3_T4_T5_T6_T7_T8_
	.p2align	8
	.type	_ZN2ck32kernel_gemm_xdlops_skip_b_lds_v1INS_48GridwiseGemm_k0mk1_k0nk1_mn_xdlops_skip_b_lds_v1ILi256EfffLNS_25InMemoryDataOperationEnumE0ENS_16TensorDescriptorINS_5TupleIJNS_5EmbedINS4_IJiiEEENS4_IJiNS_17integral_constantIiLi1EEEEEELb0EEENS_7UnMergeINS4_IJiNS7_IiLi4EEEEEELb0EEENS_11PassThroughIiEEEEENS4_IJNS_8SequenceIJLi0EEEENSI_IJLi2EEEENSI_IJLi1EEEEEEENS4_IJNSI_IJLi1ELi2EEEENSI_IJLi3ELi4EEEENSI_IJLi5EEEEEEENSI_IJLi3ELi5ELi4EEEElEENS3_INS4_IJNS5_IS6_NS4_IJS8_iEEELb0EEESE_SG_EEENS4_IJSJ_SL_SK_EEESQ_SR_lEENS3_INS4_IJSA_SG_SG_EEESW_NS4_IJSN_NSI_IJLi3EEEENSI_IJLi4EEEEEEESO_lEENS_16tensor_operation12element_wise11PassThroughES15_S15_Li16ELi128ELi4ELi16ELi16ELi4ELi1ELi1ENSI_IJLi16ELi16ELi1EEEENSI_IJLi1ELi0ELi2EEEES17_Li2ELi4ELi4ELb0ELb1ELi4ELb0ELi4ENSI_IJLi0ELi2ELi4ELi5ELi6ELi1ELi3ELi7EEEELi7ELi1EEEffSS_SX_S12_S15_S15_S15_NS_13TensorAdaptorINS4_IJNSB_IS6_Lb0EEES1B_NS_23Merge_v2_magic_divisionINS4_IJiiiiEEEEEEEENS4_IJSJ_SL_NSI_IJLi2ELi3ELi4ELi5EEEEEEENS4_IJNSI_IJLi2ELi4EEEENSI_IJLi3ELi5EEEENSI_IJLi6EEEEEEENSI_IJLi0ELi1EEEES1K_EELb1EEEvPKT0_S1Q_PT1_T2_T3_T4_T5_T6_T7_T8_,@function
_ZN2ck32kernel_gemm_xdlops_skip_b_lds_v1INS_48GridwiseGemm_k0mk1_k0nk1_mn_xdlops_skip_b_lds_v1ILi256EfffLNS_25InMemoryDataOperationEnumE0ENS_16TensorDescriptorINS_5TupleIJNS_5EmbedINS4_IJiiEEENS4_IJiNS_17integral_constantIiLi1EEEEEELb0EEENS_7UnMergeINS4_IJiNS7_IiLi4EEEEEELb0EEENS_11PassThroughIiEEEEENS4_IJNS_8SequenceIJLi0EEEENSI_IJLi2EEEENSI_IJLi1EEEEEEENS4_IJNSI_IJLi1ELi2EEEENSI_IJLi3ELi4EEEENSI_IJLi5EEEEEEENSI_IJLi3ELi5ELi4EEEElEENS3_INS4_IJNS5_IS6_NS4_IJS8_iEEELb0EEESE_SG_EEENS4_IJSJ_SL_SK_EEESQ_SR_lEENS3_INS4_IJSA_SG_SG_EEESW_NS4_IJSN_NSI_IJLi3EEEENSI_IJLi4EEEEEEESO_lEENS_16tensor_operation12element_wise11PassThroughES15_S15_Li16ELi128ELi4ELi16ELi16ELi4ELi1ELi1ENSI_IJLi16ELi16ELi1EEEENSI_IJLi1ELi0ELi2EEEES17_Li2ELi4ELi4ELb0ELb1ELi4ELb0ELi4ENSI_IJLi0ELi2ELi4ELi5ELi6ELi1ELi3ELi7EEEELi7ELi1EEEffSS_SX_S12_S15_S15_S15_NS_13TensorAdaptorINS4_IJNSB_IS6_Lb0EEES1B_NS_23Merge_v2_magic_divisionINS4_IJiiiiEEEEEEEENS4_IJSJ_SL_NSI_IJLi2ELi3ELi4ELi5EEEEEEENS4_IJNSI_IJLi2ELi4EEEENSI_IJLi3ELi5EEEENSI_IJLi6EEEEEEENSI_IJLi0ELi1EEEES1K_EELb1EEEvPKT0_S1Q_PT1_T2_T3_T4_T5_T6_T7_T8_: ; @_ZN2ck32kernel_gemm_xdlops_skip_b_lds_v1INS_48GridwiseGemm_k0mk1_k0nk1_mn_xdlops_skip_b_lds_v1ILi256EfffLNS_25InMemoryDataOperationEnumE0ENS_16TensorDescriptorINS_5TupleIJNS_5EmbedINS4_IJiiEEENS4_IJiNS_17integral_constantIiLi1EEEEEELb0EEENS_7UnMergeINS4_IJiNS7_IiLi4EEEEEELb0EEENS_11PassThroughIiEEEEENS4_IJNS_8SequenceIJLi0EEEENSI_IJLi2EEEENSI_IJLi1EEEEEEENS4_IJNSI_IJLi1ELi2EEEENSI_IJLi3ELi4EEEENSI_IJLi5EEEEEEENSI_IJLi3ELi5ELi4EEEElEENS3_INS4_IJNS5_IS6_NS4_IJS8_iEEELb0EEESE_SG_EEENS4_IJSJ_SL_SK_EEESQ_SR_lEENS3_INS4_IJSA_SG_SG_EEESW_NS4_IJSN_NSI_IJLi3EEEENSI_IJLi4EEEEEEESO_lEENS_16tensor_operation12element_wise11PassThroughES15_S15_Li16ELi128ELi4ELi16ELi16ELi4ELi1ELi1ENSI_IJLi16ELi16ELi1EEEENSI_IJLi1ELi0ELi2EEEES17_Li2ELi4ELi4ELb0ELb1ELi4ELb0ELi4ENSI_IJLi0ELi2ELi4ELi5ELi6ELi1ELi3ELi7EEEELi7ELi1EEEffSS_SX_S12_S15_S15_S15_NS_13TensorAdaptorINS4_IJNSB_IS6_Lb0EEES1B_NS_23Merge_v2_magic_divisionINS4_IJiiiiEEEEEEEENS4_IJSJ_SL_NSI_IJLi2ELi3ELi4ELi5EEEEEEENS4_IJNSI_IJLi2ELi4EEEENSI_IJLi3ELi5EEEENSI_IJLi6EEEEEEENSI_IJLi0ELi1EEEES1K_EELb1EEEvPKT0_S1Q_PT1_T2_T3_T4_T5_T6_T7_T8_
; %bb.0:
	s_endpgm
	.section	.rodata,"a",@progbits
	.p2align	6, 0x0
	.amdhsa_kernel _ZN2ck32kernel_gemm_xdlops_skip_b_lds_v1INS_48GridwiseGemm_k0mk1_k0nk1_mn_xdlops_skip_b_lds_v1ILi256EfffLNS_25InMemoryDataOperationEnumE0ENS_16TensorDescriptorINS_5TupleIJNS_5EmbedINS4_IJiiEEENS4_IJiNS_17integral_constantIiLi1EEEEEELb0EEENS_7UnMergeINS4_IJiNS7_IiLi4EEEEEELb0EEENS_11PassThroughIiEEEEENS4_IJNS_8SequenceIJLi0EEEENSI_IJLi2EEEENSI_IJLi1EEEEEEENS4_IJNSI_IJLi1ELi2EEEENSI_IJLi3ELi4EEEENSI_IJLi5EEEEEEENSI_IJLi3ELi5ELi4EEEElEENS3_INS4_IJNS5_IS6_NS4_IJS8_iEEELb0EEESE_SG_EEENS4_IJSJ_SL_SK_EEESQ_SR_lEENS3_INS4_IJSA_SG_SG_EEESW_NS4_IJSN_NSI_IJLi3EEEENSI_IJLi4EEEEEEESO_lEENS_16tensor_operation12element_wise11PassThroughES15_S15_Li16ELi128ELi4ELi16ELi16ELi4ELi1ELi1ENSI_IJLi16ELi16ELi1EEEENSI_IJLi1ELi0ELi2EEEES17_Li2ELi4ELi4ELb0ELb1ELi4ELb0ELi4ENSI_IJLi0ELi2ELi4ELi5ELi6ELi1ELi3ELi7EEEELi7ELi1EEEffSS_SX_S12_S15_S15_S15_NS_13TensorAdaptorINS4_IJNSB_IS6_Lb0EEES1B_NS_23Merge_v2_magic_divisionINS4_IJiiiiEEEEEEEENS4_IJSJ_SL_NSI_IJLi2ELi3ELi4ELi5EEEEEEENS4_IJNSI_IJLi2ELi4EEEENSI_IJLi3ELi5EEEENSI_IJLi6EEEEEEENSI_IJLi0ELi1EEEES1K_EELb1EEEvPKT0_S1Q_PT1_T2_T3_T4_T5_T6_T7_T8_
		.amdhsa_group_segment_fixed_size 0
		.amdhsa_private_segment_fixed_size 0
		.amdhsa_kernarg_size 252
		.amdhsa_user_sgpr_count 2
		.amdhsa_user_sgpr_dispatch_ptr 0
		.amdhsa_user_sgpr_queue_ptr 0
		.amdhsa_user_sgpr_kernarg_segment_ptr 1
		.amdhsa_user_sgpr_dispatch_id 0
		.amdhsa_user_sgpr_kernarg_preload_length 0
		.amdhsa_user_sgpr_kernarg_preload_offset 0
		.amdhsa_user_sgpr_private_segment_size 0
		.amdhsa_uses_dynamic_stack 0
		.amdhsa_enable_private_segment 0
		.amdhsa_system_sgpr_workgroup_id_x 1
		.amdhsa_system_sgpr_workgroup_id_y 0
		.amdhsa_system_sgpr_workgroup_id_z 0
		.amdhsa_system_sgpr_workgroup_info 0
		.amdhsa_system_vgpr_workitem_id 0
		.amdhsa_next_free_vgpr 1
		.amdhsa_next_free_sgpr 0
		.amdhsa_accum_offset 4
		.amdhsa_reserve_vcc 0
		.amdhsa_float_round_mode_32 0
		.amdhsa_float_round_mode_16_64 0
		.amdhsa_float_denorm_mode_32 3
		.amdhsa_float_denorm_mode_16_64 3
		.amdhsa_dx10_clamp 1
		.amdhsa_ieee_mode 1
		.amdhsa_fp16_overflow 0
		.amdhsa_tg_split 0
		.amdhsa_exception_fp_ieee_invalid_op 0
		.amdhsa_exception_fp_denorm_src 0
		.amdhsa_exception_fp_ieee_div_zero 0
		.amdhsa_exception_fp_ieee_overflow 0
		.amdhsa_exception_fp_ieee_underflow 0
		.amdhsa_exception_fp_ieee_inexact 0
		.amdhsa_exception_int_div_zero 0
	.end_amdhsa_kernel
	.section	.text._ZN2ck32kernel_gemm_xdlops_skip_b_lds_v1INS_48GridwiseGemm_k0mk1_k0nk1_mn_xdlops_skip_b_lds_v1ILi256EfffLNS_25InMemoryDataOperationEnumE0ENS_16TensorDescriptorINS_5TupleIJNS_5EmbedINS4_IJiiEEENS4_IJiNS_17integral_constantIiLi1EEEEEELb0EEENS_7UnMergeINS4_IJiNS7_IiLi4EEEEEELb0EEENS_11PassThroughIiEEEEENS4_IJNS_8SequenceIJLi0EEEENSI_IJLi2EEEENSI_IJLi1EEEEEEENS4_IJNSI_IJLi1ELi2EEEENSI_IJLi3ELi4EEEENSI_IJLi5EEEEEEENSI_IJLi3ELi5ELi4EEEElEENS3_INS4_IJNS5_IS6_NS4_IJS8_iEEELb0EEESE_SG_EEENS4_IJSJ_SL_SK_EEESQ_SR_lEENS3_INS4_IJSA_SG_SG_EEESW_NS4_IJSN_NSI_IJLi3EEEENSI_IJLi4EEEEEEESO_lEENS_16tensor_operation12element_wise11PassThroughES15_S15_Li16ELi128ELi4ELi16ELi16ELi4ELi1ELi1ENSI_IJLi16ELi16ELi1EEEENSI_IJLi1ELi0ELi2EEEES17_Li2ELi4ELi4ELb0ELb1ELi4ELb0ELi4ENSI_IJLi0ELi2ELi4ELi5ELi6ELi1ELi3ELi7EEEELi7ELi1EEEffSS_SX_S12_S15_S15_S15_NS_13TensorAdaptorINS4_IJNSB_IS6_Lb0EEES1B_NS_23Merge_v2_magic_divisionINS4_IJiiiiEEEEEEEENS4_IJSJ_SL_NSI_IJLi2ELi3ELi4ELi5EEEEEEENS4_IJNSI_IJLi2ELi4EEEENSI_IJLi3ELi5EEEENSI_IJLi6EEEEEEENSI_IJLi0ELi1EEEES1K_EELb1EEEvPKT0_S1Q_PT1_T2_T3_T4_T5_T6_T7_T8_,"axG",@progbits,_ZN2ck32kernel_gemm_xdlops_skip_b_lds_v1INS_48GridwiseGemm_k0mk1_k0nk1_mn_xdlops_skip_b_lds_v1ILi256EfffLNS_25InMemoryDataOperationEnumE0ENS_16TensorDescriptorINS_5TupleIJNS_5EmbedINS4_IJiiEEENS4_IJiNS_17integral_constantIiLi1EEEEEELb0EEENS_7UnMergeINS4_IJiNS7_IiLi4EEEEEELb0EEENS_11PassThroughIiEEEEENS4_IJNS_8SequenceIJLi0EEEENSI_IJLi2EEEENSI_IJLi1EEEEEEENS4_IJNSI_IJLi1ELi2EEEENSI_IJLi3ELi4EEEENSI_IJLi5EEEEEEENSI_IJLi3ELi5ELi4EEEElEENS3_INS4_IJNS5_IS6_NS4_IJS8_iEEELb0EEESE_SG_EEENS4_IJSJ_SL_SK_EEESQ_SR_lEENS3_INS4_IJSA_SG_SG_EEESW_NS4_IJSN_NSI_IJLi3EEEENSI_IJLi4EEEEEEESO_lEENS_16tensor_operation12element_wise11PassThroughES15_S15_Li16ELi128ELi4ELi16ELi16ELi4ELi1ELi1ENSI_IJLi16ELi16ELi1EEEENSI_IJLi1ELi0ELi2EEEES17_Li2ELi4ELi4ELb0ELb1ELi4ELb0ELi4ENSI_IJLi0ELi2ELi4ELi5ELi6ELi1ELi3ELi7EEEELi7ELi1EEEffSS_SX_S12_S15_S15_S15_NS_13TensorAdaptorINS4_IJNSB_IS6_Lb0EEES1B_NS_23Merge_v2_magic_divisionINS4_IJiiiiEEEEEEEENS4_IJSJ_SL_NSI_IJLi2ELi3ELi4ELi5EEEEEEENS4_IJNSI_IJLi2ELi4EEEENSI_IJLi3ELi5EEEENSI_IJLi6EEEEEEENSI_IJLi0ELi1EEEES1K_EELb1EEEvPKT0_S1Q_PT1_T2_T3_T4_T5_T6_T7_T8_,comdat
.Lfunc_end3:
	.size	_ZN2ck32kernel_gemm_xdlops_skip_b_lds_v1INS_48GridwiseGemm_k0mk1_k0nk1_mn_xdlops_skip_b_lds_v1ILi256EfffLNS_25InMemoryDataOperationEnumE0ENS_16TensorDescriptorINS_5TupleIJNS_5EmbedINS4_IJiiEEENS4_IJiNS_17integral_constantIiLi1EEEEEELb0EEENS_7UnMergeINS4_IJiNS7_IiLi4EEEEEELb0EEENS_11PassThroughIiEEEEENS4_IJNS_8SequenceIJLi0EEEENSI_IJLi2EEEENSI_IJLi1EEEEEEENS4_IJNSI_IJLi1ELi2EEEENSI_IJLi3ELi4EEEENSI_IJLi5EEEEEEENSI_IJLi3ELi5ELi4EEEElEENS3_INS4_IJNS5_IS6_NS4_IJS8_iEEELb0EEESE_SG_EEENS4_IJSJ_SL_SK_EEESQ_SR_lEENS3_INS4_IJSA_SG_SG_EEESW_NS4_IJSN_NSI_IJLi3EEEENSI_IJLi4EEEEEEESO_lEENS_16tensor_operation12element_wise11PassThroughES15_S15_Li16ELi128ELi4ELi16ELi16ELi4ELi1ELi1ENSI_IJLi16ELi16ELi1EEEENSI_IJLi1ELi0ELi2EEEES17_Li2ELi4ELi4ELb0ELb1ELi4ELb0ELi4ENSI_IJLi0ELi2ELi4ELi5ELi6ELi1ELi3ELi7EEEELi7ELi1EEEffSS_SX_S12_S15_S15_S15_NS_13TensorAdaptorINS4_IJNSB_IS6_Lb0EEES1B_NS_23Merge_v2_magic_divisionINS4_IJiiiiEEEEEEEENS4_IJSJ_SL_NSI_IJLi2ELi3ELi4ELi5EEEEEEENS4_IJNSI_IJLi2ELi4EEEENSI_IJLi3ELi5EEEENSI_IJLi6EEEEEEENSI_IJLi0ELi1EEEES1K_EELb1EEEvPKT0_S1Q_PT1_T2_T3_T4_T5_T6_T7_T8_, .Lfunc_end3-_ZN2ck32kernel_gemm_xdlops_skip_b_lds_v1INS_48GridwiseGemm_k0mk1_k0nk1_mn_xdlops_skip_b_lds_v1ILi256EfffLNS_25InMemoryDataOperationEnumE0ENS_16TensorDescriptorINS_5TupleIJNS_5EmbedINS4_IJiiEEENS4_IJiNS_17integral_constantIiLi1EEEEEELb0EEENS_7UnMergeINS4_IJiNS7_IiLi4EEEEEELb0EEENS_11PassThroughIiEEEEENS4_IJNS_8SequenceIJLi0EEEENSI_IJLi2EEEENSI_IJLi1EEEEEEENS4_IJNSI_IJLi1ELi2EEEENSI_IJLi3ELi4EEEENSI_IJLi5EEEEEEENSI_IJLi3ELi5ELi4EEEElEENS3_INS4_IJNS5_IS6_NS4_IJS8_iEEELb0EEESE_SG_EEENS4_IJSJ_SL_SK_EEESQ_SR_lEENS3_INS4_IJSA_SG_SG_EEESW_NS4_IJSN_NSI_IJLi3EEEENSI_IJLi4EEEEEEESO_lEENS_16tensor_operation12element_wise11PassThroughES15_S15_Li16ELi128ELi4ELi16ELi16ELi4ELi1ELi1ENSI_IJLi16ELi16ELi1EEEENSI_IJLi1ELi0ELi2EEEES17_Li2ELi4ELi4ELb0ELb1ELi4ELb0ELi4ENSI_IJLi0ELi2ELi4ELi5ELi6ELi1ELi3ELi7EEEELi7ELi1EEEffSS_SX_S12_S15_S15_S15_NS_13TensorAdaptorINS4_IJNSB_IS6_Lb0EEES1B_NS_23Merge_v2_magic_divisionINS4_IJiiiiEEEEEEEENS4_IJSJ_SL_NSI_IJLi2ELi3ELi4ELi5EEEEEEENS4_IJNSI_IJLi2ELi4EEEENSI_IJLi3ELi5EEEENSI_IJLi6EEEEEEENSI_IJLi0ELi1EEEES1K_EELb1EEEvPKT0_S1Q_PT1_T2_T3_T4_T5_T6_T7_T8_
                                        ; -- End function
	.set _ZN2ck32kernel_gemm_xdlops_skip_b_lds_v1INS_48GridwiseGemm_k0mk1_k0nk1_mn_xdlops_skip_b_lds_v1ILi256EfffLNS_25InMemoryDataOperationEnumE0ENS_16TensorDescriptorINS_5TupleIJNS_5EmbedINS4_IJiiEEENS4_IJiNS_17integral_constantIiLi1EEEEEELb0EEENS_7UnMergeINS4_IJiNS7_IiLi4EEEEEELb0EEENS_11PassThroughIiEEEEENS4_IJNS_8SequenceIJLi0EEEENSI_IJLi2EEEENSI_IJLi1EEEEEEENS4_IJNSI_IJLi1ELi2EEEENSI_IJLi3ELi4EEEENSI_IJLi5EEEEEEENSI_IJLi3ELi5ELi4EEEElEENS3_INS4_IJNS5_IS6_NS4_IJS8_iEEELb0EEESE_SG_EEENS4_IJSJ_SL_SK_EEESQ_SR_lEENS3_INS4_IJSA_SG_SG_EEESW_NS4_IJSN_NSI_IJLi3EEEENSI_IJLi4EEEEEEESO_lEENS_16tensor_operation12element_wise11PassThroughES15_S15_Li16ELi128ELi4ELi16ELi16ELi4ELi1ELi1ENSI_IJLi16ELi16ELi1EEEENSI_IJLi1ELi0ELi2EEEES17_Li2ELi4ELi4ELb0ELb1ELi4ELb0ELi4ENSI_IJLi0ELi2ELi4ELi5ELi6ELi1ELi3ELi7EEEELi7ELi1EEEffSS_SX_S12_S15_S15_S15_NS_13TensorAdaptorINS4_IJNSB_IS6_Lb0EEES1B_NS_23Merge_v2_magic_divisionINS4_IJiiiiEEEEEEEENS4_IJSJ_SL_NSI_IJLi2ELi3ELi4ELi5EEEEEEENS4_IJNSI_IJLi2ELi4EEEENSI_IJLi3ELi5EEEENSI_IJLi6EEEEEEENSI_IJLi0ELi1EEEES1K_EELb1EEEvPKT0_S1Q_PT1_T2_T3_T4_T5_T6_T7_T8_.num_vgpr, 0
	.set _ZN2ck32kernel_gemm_xdlops_skip_b_lds_v1INS_48GridwiseGemm_k0mk1_k0nk1_mn_xdlops_skip_b_lds_v1ILi256EfffLNS_25InMemoryDataOperationEnumE0ENS_16TensorDescriptorINS_5TupleIJNS_5EmbedINS4_IJiiEEENS4_IJiNS_17integral_constantIiLi1EEEEEELb0EEENS_7UnMergeINS4_IJiNS7_IiLi4EEEEEELb0EEENS_11PassThroughIiEEEEENS4_IJNS_8SequenceIJLi0EEEENSI_IJLi2EEEENSI_IJLi1EEEEEEENS4_IJNSI_IJLi1ELi2EEEENSI_IJLi3ELi4EEEENSI_IJLi5EEEEEEENSI_IJLi3ELi5ELi4EEEElEENS3_INS4_IJNS5_IS6_NS4_IJS8_iEEELb0EEESE_SG_EEENS4_IJSJ_SL_SK_EEESQ_SR_lEENS3_INS4_IJSA_SG_SG_EEESW_NS4_IJSN_NSI_IJLi3EEEENSI_IJLi4EEEEEEESO_lEENS_16tensor_operation12element_wise11PassThroughES15_S15_Li16ELi128ELi4ELi16ELi16ELi4ELi1ELi1ENSI_IJLi16ELi16ELi1EEEENSI_IJLi1ELi0ELi2EEEES17_Li2ELi4ELi4ELb0ELb1ELi4ELb0ELi4ENSI_IJLi0ELi2ELi4ELi5ELi6ELi1ELi3ELi7EEEELi7ELi1EEEffSS_SX_S12_S15_S15_S15_NS_13TensorAdaptorINS4_IJNSB_IS6_Lb0EEES1B_NS_23Merge_v2_magic_divisionINS4_IJiiiiEEEEEEEENS4_IJSJ_SL_NSI_IJLi2ELi3ELi4ELi5EEEEEEENS4_IJNSI_IJLi2ELi4EEEENSI_IJLi3ELi5EEEENSI_IJLi6EEEEEEENSI_IJLi0ELi1EEEES1K_EELb1EEEvPKT0_S1Q_PT1_T2_T3_T4_T5_T6_T7_T8_.num_agpr, 0
	.set _ZN2ck32kernel_gemm_xdlops_skip_b_lds_v1INS_48GridwiseGemm_k0mk1_k0nk1_mn_xdlops_skip_b_lds_v1ILi256EfffLNS_25InMemoryDataOperationEnumE0ENS_16TensorDescriptorINS_5TupleIJNS_5EmbedINS4_IJiiEEENS4_IJiNS_17integral_constantIiLi1EEEEEELb0EEENS_7UnMergeINS4_IJiNS7_IiLi4EEEEEELb0EEENS_11PassThroughIiEEEEENS4_IJNS_8SequenceIJLi0EEEENSI_IJLi2EEEENSI_IJLi1EEEEEEENS4_IJNSI_IJLi1ELi2EEEENSI_IJLi3ELi4EEEENSI_IJLi5EEEEEEENSI_IJLi3ELi5ELi4EEEElEENS3_INS4_IJNS5_IS6_NS4_IJS8_iEEELb0EEESE_SG_EEENS4_IJSJ_SL_SK_EEESQ_SR_lEENS3_INS4_IJSA_SG_SG_EEESW_NS4_IJSN_NSI_IJLi3EEEENSI_IJLi4EEEEEEESO_lEENS_16tensor_operation12element_wise11PassThroughES15_S15_Li16ELi128ELi4ELi16ELi16ELi4ELi1ELi1ENSI_IJLi16ELi16ELi1EEEENSI_IJLi1ELi0ELi2EEEES17_Li2ELi4ELi4ELb0ELb1ELi4ELb0ELi4ENSI_IJLi0ELi2ELi4ELi5ELi6ELi1ELi3ELi7EEEELi7ELi1EEEffSS_SX_S12_S15_S15_S15_NS_13TensorAdaptorINS4_IJNSB_IS6_Lb0EEES1B_NS_23Merge_v2_magic_divisionINS4_IJiiiiEEEEEEEENS4_IJSJ_SL_NSI_IJLi2ELi3ELi4ELi5EEEEEEENS4_IJNSI_IJLi2ELi4EEEENSI_IJLi3ELi5EEEENSI_IJLi6EEEEEEENSI_IJLi0ELi1EEEES1K_EELb1EEEvPKT0_S1Q_PT1_T2_T3_T4_T5_T6_T7_T8_.numbered_sgpr, 0
	.set _ZN2ck32kernel_gemm_xdlops_skip_b_lds_v1INS_48GridwiseGemm_k0mk1_k0nk1_mn_xdlops_skip_b_lds_v1ILi256EfffLNS_25InMemoryDataOperationEnumE0ENS_16TensorDescriptorINS_5TupleIJNS_5EmbedINS4_IJiiEEENS4_IJiNS_17integral_constantIiLi1EEEEEELb0EEENS_7UnMergeINS4_IJiNS7_IiLi4EEEEEELb0EEENS_11PassThroughIiEEEEENS4_IJNS_8SequenceIJLi0EEEENSI_IJLi2EEEENSI_IJLi1EEEEEEENS4_IJNSI_IJLi1ELi2EEEENSI_IJLi3ELi4EEEENSI_IJLi5EEEEEEENSI_IJLi3ELi5ELi4EEEElEENS3_INS4_IJNS5_IS6_NS4_IJS8_iEEELb0EEESE_SG_EEENS4_IJSJ_SL_SK_EEESQ_SR_lEENS3_INS4_IJSA_SG_SG_EEESW_NS4_IJSN_NSI_IJLi3EEEENSI_IJLi4EEEEEEESO_lEENS_16tensor_operation12element_wise11PassThroughES15_S15_Li16ELi128ELi4ELi16ELi16ELi4ELi1ELi1ENSI_IJLi16ELi16ELi1EEEENSI_IJLi1ELi0ELi2EEEES17_Li2ELi4ELi4ELb0ELb1ELi4ELb0ELi4ENSI_IJLi0ELi2ELi4ELi5ELi6ELi1ELi3ELi7EEEELi7ELi1EEEffSS_SX_S12_S15_S15_S15_NS_13TensorAdaptorINS4_IJNSB_IS6_Lb0EEES1B_NS_23Merge_v2_magic_divisionINS4_IJiiiiEEEEEEEENS4_IJSJ_SL_NSI_IJLi2ELi3ELi4ELi5EEEEEEENS4_IJNSI_IJLi2ELi4EEEENSI_IJLi3ELi5EEEENSI_IJLi6EEEEEEENSI_IJLi0ELi1EEEES1K_EELb1EEEvPKT0_S1Q_PT1_T2_T3_T4_T5_T6_T7_T8_.num_named_barrier, 0
	.set _ZN2ck32kernel_gemm_xdlops_skip_b_lds_v1INS_48GridwiseGemm_k0mk1_k0nk1_mn_xdlops_skip_b_lds_v1ILi256EfffLNS_25InMemoryDataOperationEnumE0ENS_16TensorDescriptorINS_5TupleIJNS_5EmbedINS4_IJiiEEENS4_IJiNS_17integral_constantIiLi1EEEEEELb0EEENS_7UnMergeINS4_IJiNS7_IiLi4EEEEEELb0EEENS_11PassThroughIiEEEEENS4_IJNS_8SequenceIJLi0EEEENSI_IJLi2EEEENSI_IJLi1EEEEEEENS4_IJNSI_IJLi1ELi2EEEENSI_IJLi3ELi4EEEENSI_IJLi5EEEEEEENSI_IJLi3ELi5ELi4EEEElEENS3_INS4_IJNS5_IS6_NS4_IJS8_iEEELb0EEESE_SG_EEENS4_IJSJ_SL_SK_EEESQ_SR_lEENS3_INS4_IJSA_SG_SG_EEESW_NS4_IJSN_NSI_IJLi3EEEENSI_IJLi4EEEEEEESO_lEENS_16tensor_operation12element_wise11PassThroughES15_S15_Li16ELi128ELi4ELi16ELi16ELi4ELi1ELi1ENSI_IJLi16ELi16ELi1EEEENSI_IJLi1ELi0ELi2EEEES17_Li2ELi4ELi4ELb0ELb1ELi4ELb0ELi4ENSI_IJLi0ELi2ELi4ELi5ELi6ELi1ELi3ELi7EEEELi7ELi1EEEffSS_SX_S12_S15_S15_S15_NS_13TensorAdaptorINS4_IJNSB_IS6_Lb0EEES1B_NS_23Merge_v2_magic_divisionINS4_IJiiiiEEEEEEEENS4_IJSJ_SL_NSI_IJLi2ELi3ELi4ELi5EEEEEEENS4_IJNSI_IJLi2ELi4EEEENSI_IJLi3ELi5EEEENSI_IJLi6EEEEEEENSI_IJLi0ELi1EEEES1K_EELb1EEEvPKT0_S1Q_PT1_T2_T3_T4_T5_T6_T7_T8_.private_seg_size, 0
	.set _ZN2ck32kernel_gemm_xdlops_skip_b_lds_v1INS_48GridwiseGemm_k0mk1_k0nk1_mn_xdlops_skip_b_lds_v1ILi256EfffLNS_25InMemoryDataOperationEnumE0ENS_16TensorDescriptorINS_5TupleIJNS_5EmbedINS4_IJiiEEENS4_IJiNS_17integral_constantIiLi1EEEEEELb0EEENS_7UnMergeINS4_IJiNS7_IiLi4EEEEEELb0EEENS_11PassThroughIiEEEEENS4_IJNS_8SequenceIJLi0EEEENSI_IJLi2EEEENSI_IJLi1EEEEEEENS4_IJNSI_IJLi1ELi2EEEENSI_IJLi3ELi4EEEENSI_IJLi5EEEEEEENSI_IJLi3ELi5ELi4EEEElEENS3_INS4_IJNS5_IS6_NS4_IJS8_iEEELb0EEESE_SG_EEENS4_IJSJ_SL_SK_EEESQ_SR_lEENS3_INS4_IJSA_SG_SG_EEESW_NS4_IJSN_NSI_IJLi3EEEENSI_IJLi4EEEEEEESO_lEENS_16tensor_operation12element_wise11PassThroughES15_S15_Li16ELi128ELi4ELi16ELi16ELi4ELi1ELi1ENSI_IJLi16ELi16ELi1EEEENSI_IJLi1ELi0ELi2EEEES17_Li2ELi4ELi4ELb0ELb1ELi4ELb0ELi4ENSI_IJLi0ELi2ELi4ELi5ELi6ELi1ELi3ELi7EEEELi7ELi1EEEffSS_SX_S12_S15_S15_S15_NS_13TensorAdaptorINS4_IJNSB_IS6_Lb0EEES1B_NS_23Merge_v2_magic_divisionINS4_IJiiiiEEEEEEEENS4_IJSJ_SL_NSI_IJLi2ELi3ELi4ELi5EEEEEEENS4_IJNSI_IJLi2ELi4EEEENSI_IJLi3ELi5EEEENSI_IJLi6EEEEEEENSI_IJLi0ELi1EEEES1K_EELb1EEEvPKT0_S1Q_PT1_T2_T3_T4_T5_T6_T7_T8_.uses_vcc, 0
	.set _ZN2ck32kernel_gemm_xdlops_skip_b_lds_v1INS_48GridwiseGemm_k0mk1_k0nk1_mn_xdlops_skip_b_lds_v1ILi256EfffLNS_25InMemoryDataOperationEnumE0ENS_16TensorDescriptorINS_5TupleIJNS_5EmbedINS4_IJiiEEENS4_IJiNS_17integral_constantIiLi1EEEEEELb0EEENS_7UnMergeINS4_IJiNS7_IiLi4EEEEEELb0EEENS_11PassThroughIiEEEEENS4_IJNS_8SequenceIJLi0EEEENSI_IJLi2EEEENSI_IJLi1EEEEEEENS4_IJNSI_IJLi1ELi2EEEENSI_IJLi3ELi4EEEENSI_IJLi5EEEEEEENSI_IJLi3ELi5ELi4EEEElEENS3_INS4_IJNS5_IS6_NS4_IJS8_iEEELb0EEESE_SG_EEENS4_IJSJ_SL_SK_EEESQ_SR_lEENS3_INS4_IJSA_SG_SG_EEESW_NS4_IJSN_NSI_IJLi3EEEENSI_IJLi4EEEEEEESO_lEENS_16tensor_operation12element_wise11PassThroughES15_S15_Li16ELi128ELi4ELi16ELi16ELi4ELi1ELi1ENSI_IJLi16ELi16ELi1EEEENSI_IJLi1ELi0ELi2EEEES17_Li2ELi4ELi4ELb0ELb1ELi4ELb0ELi4ENSI_IJLi0ELi2ELi4ELi5ELi6ELi1ELi3ELi7EEEELi7ELi1EEEffSS_SX_S12_S15_S15_S15_NS_13TensorAdaptorINS4_IJNSB_IS6_Lb0EEES1B_NS_23Merge_v2_magic_divisionINS4_IJiiiiEEEEEEEENS4_IJSJ_SL_NSI_IJLi2ELi3ELi4ELi5EEEEEEENS4_IJNSI_IJLi2ELi4EEEENSI_IJLi3ELi5EEEENSI_IJLi6EEEEEEENSI_IJLi0ELi1EEEES1K_EELb1EEEvPKT0_S1Q_PT1_T2_T3_T4_T5_T6_T7_T8_.uses_flat_scratch, 0
	.set _ZN2ck32kernel_gemm_xdlops_skip_b_lds_v1INS_48GridwiseGemm_k0mk1_k0nk1_mn_xdlops_skip_b_lds_v1ILi256EfffLNS_25InMemoryDataOperationEnumE0ENS_16TensorDescriptorINS_5TupleIJNS_5EmbedINS4_IJiiEEENS4_IJiNS_17integral_constantIiLi1EEEEEELb0EEENS_7UnMergeINS4_IJiNS7_IiLi4EEEEEELb0EEENS_11PassThroughIiEEEEENS4_IJNS_8SequenceIJLi0EEEENSI_IJLi2EEEENSI_IJLi1EEEEEEENS4_IJNSI_IJLi1ELi2EEEENSI_IJLi3ELi4EEEENSI_IJLi5EEEEEEENSI_IJLi3ELi5ELi4EEEElEENS3_INS4_IJNS5_IS6_NS4_IJS8_iEEELb0EEESE_SG_EEENS4_IJSJ_SL_SK_EEESQ_SR_lEENS3_INS4_IJSA_SG_SG_EEESW_NS4_IJSN_NSI_IJLi3EEEENSI_IJLi4EEEEEEESO_lEENS_16tensor_operation12element_wise11PassThroughES15_S15_Li16ELi128ELi4ELi16ELi16ELi4ELi1ELi1ENSI_IJLi16ELi16ELi1EEEENSI_IJLi1ELi0ELi2EEEES17_Li2ELi4ELi4ELb0ELb1ELi4ELb0ELi4ENSI_IJLi0ELi2ELi4ELi5ELi6ELi1ELi3ELi7EEEELi7ELi1EEEffSS_SX_S12_S15_S15_S15_NS_13TensorAdaptorINS4_IJNSB_IS6_Lb0EEES1B_NS_23Merge_v2_magic_divisionINS4_IJiiiiEEEEEEEENS4_IJSJ_SL_NSI_IJLi2ELi3ELi4ELi5EEEEEEENS4_IJNSI_IJLi2ELi4EEEENSI_IJLi3ELi5EEEENSI_IJLi6EEEEEEENSI_IJLi0ELi1EEEES1K_EELb1EEEvPKT0_S1Q_PT1_T2_T3_T4_T5_T6_T7_T8_.has_dyn_sized_stack, 0
	.set _ZN2ck32kernel_gemm_xdlops_skip_b_lds_v1INS_48GridwiseGemm_k0mk1_k0nk1_mn_xdlops_skip_b_lds_v1ILi256EfffLNS_25InMemoryDataOperationEnumE0ENS_16TensorDescriptorINS_5TupleIJNS_5EmbedINS4_IJiiEEENS4_IJiNS_17integral_constantIiLi1EEEEEELb0EEENS_7UnMergeINS4_IJiNS7_IiLi4EEEEEELb0EEENS_11PassThroughIiEEEEENS4_IJNS_8SequenceIJLi0EEEENSI_IJLi2EEEENSI_IJLi1EEEEEEENS4_IJNSI_IJLi1ELi2EEEENSI_IJLi3ELi4EEEENSI_IJLi5EEEEEEENSI_IJLi3ELi5ELi4EEEElEENS3_INS4_IJNS5_IS6_NS4_IJS8_iEEELb0EEESE_SG_EEENS4_IJSJ_SL_SK_EEESQ_SR_lEENS3_INS4_IJSA_SG_SG_EEESW_NS4_IJSN_NSI_IJLi3EEEENSI_IJLi4EEEEEEESO_lEENS_16tensor_operation12element_wise11PassThroughES15_S15_Li16ELi128ELi4ELi16ELi16ELi4ELi1ELi1ENSI_IJLi16ELi16ELi1EEEENSI_IJLi1ELi0ELi2EEEES17_Li2ELi4ELi4ELb0ELb1ELi4ELb0ELi4ENSI_IJLi0ELi2ELi4ELi5ELi6ELi1ELi3ELi7EEEELi7ELi1EEEffSS_SX_S12_S15_S15_S15_NS_13TensorAdaptorINS4_IJNSB_IS6_Lb0EEES1B_NS_23Merge_v2_magic_divisionINS4_IJiiiiEEEEEEEENS4_IJSJ_SL_NSI_IJLi2ELi3ELi4ELi5EEEEEEENS4_IJNSI_IJLi2ELi4EEEENSI_IJLi3ELi5EEEENSI_IJLi6EEEEEEENSI_IJLi0ELi1EEEES1K_EELb1EEEvPKT0_S1Q_PT1_T2_T3_T4_T5_T6_T7_T8_.has_recursion, 0
	.set _ZN2ck32kernel_gemm_xdlops_skip_b_lds_v1INS_48GridwiseGemm_k0mk1_k0nk1_mn_xdlops_skip_b_lds_v1ILi256EfffLNS_25InMemoryDataOperationEnumE0ENS_16TensorDescriptorINS_5TupleIJNS_5EmbedINS4_IJiiEEENS4_IJiNS_17integral_constantIiLi1EEEEEELb0EEENS_7UnMergeINS4_IJiNS7_IiLi4EEEEEELb0EEENS_11PassThroughIiEEEEENS4_IJNS_8SequenceIJLi0EEEENSI_IJLi2EEEENSI_IJLi1EEEEEEENS4_IJNSI_IJLi1ELi2EEEENSI_IJLi3ELi4EEEENSI_IJLi5EEEEEEENSI_IJLi3ELi5ELi4EEEElEENS3_INS4_IJNS5_IS6_NS4_IJS8_iEEELb0EEESE_SG_EEENS4_IJSJ_SL_SK_EEESQ_SR_lEENS3_INS4_IJSA_SG_SG_EEESW_NS4_IJSN_NSI_IJLi3EEEENSI_IJLi4EEEEEEESO_lEENS_16tensor_operation12element_wise11PassThroughES15_S15_Li16ELi128ELi4ELi16ELi16ELi4ELi1ELi1ENSI_IJLi16ELi16ELi1EEEENSI_IJLi1ELi0ELi2EEEES17_Li2ELi4ELi4ELb0ELb1ELi4ELb0ELi4ENSI_IJLi0ELi2ELi4ELi5ELi6ELi1ELi3ELi7EEEELi7ELi1EEEffSS_SX_S12_S15_S15_S15_NS_13TensorAdaptorINS4_IJNSB_IS6_Lb0EEES1B_NS_23Merge_v2_magic_divisionINS4_IJiiiiEEEEEEEENS4_IJSJ_SL_NSI_IJLi2ELi3ELi4ELi5EEEEEEENS4_IJNSI_IJLi2ELi4EEEENSI_IJLi3ELi5EEEENSI_IJLi6EEEEEEENSI_IJLi0ELi1EEEES1K_EELb1EEEvPKT0_S1Q_PT1_T2_T3_T4_T5_T6_T7_T8_.has_indirect_call, 0
	.section	.AMDGPU.csdata,"",@progbits
; Kernel info:
; codeLenInByte = 4
; TotalNumSgprs: 6
; NumVgprs: 0
; NumAgprs: 0
; TotalNumVgprs: 0
; ScratchSize: 0
; MemoryBound: 0
; FloatMode: 240
; IeeeMode: 1
; LDSByteSize: 0 bytes/workgroup (compile time only)
; SGPRBlocks: 0
; VGPRBlocks: 0
; NumSGPRsForWavesPerEU: 6
; NumVGPRsForWavesPerEU: 1
; AccumOffset: 4
; Occupancy: 8
; WaveLimiterHint : 0
; COMPUTE_PGM_RSRC2:SCRATCH_EN: 0
; COMPUTE_PGM_RSRC2:USER_SGPR: 2
; COMPUTE_PGM_RSRC2:TRAP_HANDLER: 0
; COMPUTE_PGM_RSRC2:TGID_X_EN: 1
; COMPUTE_PGM_RSRC2:TGID_Y_EN: 0
; COMPUTE_PGM_RSRC2:TGID_Z_EN: 0
; COMPUTE_PGM_RSRC2:TIDIG_COMP_CNT: 0
; COMPUTE_PGM_RSRC3_GFX90A:ACCUM_OFFSET: 0
; COMPUTE_PGM_RSRC3_GFX90A:TG_SPLIT: 0
	.section	.text._ZN2ck32kernel_gemm_xdlops_skip_b_lds_v1INS_48GridwiseGemm_k0mk1_k0nk1_mn_xdlops_skip_b_lds_v1ILi256EfffLNS_25InMemoryDataOperationEnumE0ENS_16TensorDescriptorINS_5TupleIJNS_5EmbedINS4_IJiiEEENS4_IJiNS_17integral_constantIiLi1EEEEEELb0EEENS_7UnMergeINS4_IJiNS7_IiLi4EEEEEELb0EEENS_11PassThroughIiEEEEENS4_IJNS_8SequenceIJLi0EEEENSI_IJLi2EEEENSI_IJLi1EEEEEEENS4_IJNSI_IJLi1ELi2EEEENSI_IJLi3ELi4EEEENSI_IJLi5EEEEEEENSI_IJLi3ELi5ELi4EEEElEENS3_INS4_IJNS5_IS6_NS4_IJS8_iEEELb0EEESE_SG_EEENS4_IJSJ_SL_SK_EEESQ_SR_lEENS3_INS4_IJSA_SG_SG_EEESW_NS4_IJSN_NSI_IJLi3EEEENSI_IJLi4EEEEEEESO_lEENS_16tensor_operation12element_wise11PassThroughES15_S15_Li16ELi128ELi4ELi16ELi16ELi4ELi1ELi1ENSI_IJLi16ELi16ELi1EEEENSI_IJLi1ELi0ELi2EEEES17_Li2ELi4ELi4ELb0ELb1ELi4ELb0ELi4ENSI_IJLi0ELi2ELi4ELi5ELi6ELi1ELi3ELi7EEEELi7ELi1EEEffSS_SX_S12_S15_S15_S15_NS_13TensorAdaptorINS4_IJNSB_IS6_Lb0EEES1B_NS_23Merge_v2_magic_divisionINS4_IJiiiiEEEEEEEENS4_IJSJ_SL_NSI_IJLi2ELi3ELi4ELi5EEEEEEENS4_IJNSI_IJLi2ELi4EEEENSI_IJLi3ELi5EEEENSI_IJLi6EEEEEEENSI_IJLi0ELi1EEEES1K_EELb0EEEvPKT0_S1Q_PT1_T2_T3_T4_T5_T6_T7_T8_,"axG",@progbits,_ZN2ck32kernel_gemm_xdlops_skip_b_lds_v1INS_48GridwiseGemm_k0mk1_k0nk1_mn_xdlops_skip_b_lds_v1ILi256EfffLNS_25InMemoryDataOperationEnumE0ENS_16TensorDescriptorINS_5TupleIJNS_5EmbedINS4_IJiiEEENS4_IJiNS_17integral_constantIiLi1EEEEEELb0EEENS_7UnMergeINS4_IJiNS7_IiLi4EEEEEELb0EEENS_11PassThroughIiEEEEENS4_IJNS_8SequenceIJLi0EEEENSI_IJLi2EEEENSI_IJLi1EEEEEEENS4_IJNSI_IJLi1ELi2EEEENSI_IJLi3ELi4EEEENSI_IJLi5EEEEEEENSI_IJLi3ELi5ELi4EEEElEENS3_INS4_IJNS5_IS6_NS4_IJS8_iEEELb0EEESE_SG_EEENS4_IJSJ_SL_SK_EEESQ_SR_lEENS3_INS4_IJSA_SG_SG_EEESW_NS4_IJSN_NSI_IJLi3EEEENSI_IJLi4EEEEEEESO_lEENS_16tensor_operation12element_wise11PassThroughES15_S15_Li16ELi128ELi4ELi16ELi16ELi4ELi1ELi1ENSI_IJLi16ELi16ELi1EEEENSI_IJLi1ELi0ELi2EEEES17_Li2ELi4ELi4ELb0ELb1ELi4ELb0ELi4ENSI_IJLi0ELi2ELi4ELi5ELi6ELi1ELi3ELi7EEEELi7ELi1EEEffSS_SX_S12_S15_S15_S15_NS_13TensorAdaptorINS4_IJNSB_IS6_Lb0EEES1B_NS_23Merge_v2_magic_divisionINS4_IJiiiiEEEEEEEENS4_IJSJ_SL_NSI_IJLi2ELi3ELi4ELi5EEEEEEENS4_IJNSI_IJLi2ELi4EEEENSI_IJLi3ELi5EEEENSI_IJLi6EEEEEEENSI_IJLi0ELi1EEEES1K_EELb0EEEvPKT0_S1Q_PT1_T2_T3_T4_T5_T6_T7_T8_,comdat
	.protected	_ZN2ck32kernel_gemm_xdlops_skip_b_lds_v1INS_48GridwiseGemm_k0mk1_k0nk1_mn_xdlops_skip_b_lds_v1ILi256EfffLNS_25InMemoryDataOperationEnumE0ENS_16TensorDescriptorINS_5TupleIJNS_5EmbedINS4_IJiiEEENS4_IJiNS_17integral_constantIiLi1EEEEEELb0EEENS_7UnMergeINS4_IJiNS7_IiLi4EEEEEELb0EEENS_11PassThroughIiEEEEENS4_IJNS_8SequenceIJLi0EEEENSI_IJLi2EEEENSI_IJLi1EEEEEEENS4_IJNSI_IJLi1ELi2EEEENSI_IJLi3ELi4EEEENSI_IJLi5EEEEEEENSI_IJLi3ELi5ELi4EEEElEENS3_INS4_IJNS5_IS6_NS4_IJS8_iEEELb0EEESE_SG_EEENS4_IJSJ_SL_SK_EEESQ_SR_lEENS3_INS4_IJSA_SG_SG_EEESW_NS4_IJSN_NSI_IJLi3EEEENSI_IJLi4EEEEEEESO_lEENS_16tensor_operation12element_wise11PassThroughES15_S15_Li16ELi128ELi4ELi16ELi16ELi4ELi1ELi1ENSI_IJLi16ELi16ELi1EEEENSI_IJLi1ELi0ELi2EEEES17_Li2ELi4ELi4ELb0ELb1ELi4ELb0ELi4ENSI_IJLi0ELi2ELi4ELi5ELi6ELi1ELi3ELi7EEEELi7ELi1EEEffSS_SX_S12_S15_S15_S15_NS_13TensorAdaptorINS4_IJNSB_IS6_Lb0EEES1B_NS_23Merge_v2_magic_divisionINS4_IJiiiiEEEEEEEENS4_IJSJ_SL_NSI_IJLi2ELi3ELi4ELi5EEEEEEENS4_IJNSI_IJLi2ELi4EEEENSI_IJLi3ELi5EEEENSI_IJLi6EEEEEEENSI_IJLi0ELi1EEEES1K_EELb0EEEvPKT0_S1Q_PT1_T2_T3_T4_T5_T6_T7_T8_ ; -- Begin function _ZN2ck32kernel_gemm_xdlops_skip_b_lds_v1INS_48GridwiseGemm_k0mk1_k0nk1_mn_xdlops_skip_b_lds_v1ILi256EfffLNS_25InMemoryDataOperationEnumE0ENS_16TensorDescriptorINS_5TupleIJNS_5EmbedINS4_IJiiEEENS4_IJiNS_17integral_constantIiLi1EEEEEELb0EEENS_7UnMergeINS4_IJiNS7_IiLi4EEEEEELb0EEENS_11PassThroughIiEEEEENS4_IJNS_8SequenceIJLi0EEEENSI_IJLi2EEEENSI_IJLi1EEEEEEENS4_IJNSI_IJLi1ELi2EEEENSI_IJLi3ELi4EEEENSI_IJLi5EEEEEEENSI_IJLi3ELi5ELi4EEEElEENS3_INS4_IJNS5_IS6_NS4_IJS8_iEEELb0EEESE_SG_EEENS4_IJSJ_SL_SK_EEESQ_SR_lEENS3_INS4_IJSA_SG_SG_EEESW_NS4_IJSN_NSI_IJLi3EEEENSI_IJLi4EEEEEEESO_lEENS_16tensor_operation12element_wise11PassThroughES15_S15_Li16ELi128ELi4ELi16ELi16ELi4ELi1ELi1ENSI_IJLi16ELi16ELi1EEEENSI_IJLi1ELi0ELi2EEEES17_Li2ELi4ELi4ELb0ELb1ELi4ELb0ELi4ENSI_IJLi0ELi2ELi4ELi5ELi6ELi1ELi3ELi7EEEELi7ELi1EEEffSS_SX_S12_S15_S15_S15_NS_13TensorAdaptorINS4_IJNSB_IS6_Lb0EEES1B_NS_23Merge_v2_magic_divisionINS4_IJiiiiEEEEEEEENS4_IJSJ_SL_NSI_IJLi2ELi3ELi4ELi5EEEEEEENS4_IJNSI_IJLi2ELi4EEEENSI_IJLi3ELi5EEEENSI_IJLi6EEEEEEENSI_IJLi0ELi1EEEES1K_EELb0EEEvPKT0_S1Q_PT1_T2_T3_T4_T5_T6_T7_T8_
	.globl	_ZN2ck32kernel_gemm_xdlops_skip_b_lds_v1INS_48GridwiseGemm_k0mk1_k0nk1_mn_xdlops_skip_b_lds_v1ILi256EfffLNS_25InMemoryDataOperationEnumE0ENS_16TensorDescriptorINS_5TupleIJNS_5EmbedINS4_IJiiEEENS4_IJiNS_17integral_constantIiLi1EEEEEELb0EEENS_7UnMergeINS4_IJiNS7_IiLi4EEEEEELb0EEENS_11PassThroughIiEEEEENS4_IJNS_8SequenceIJLi0EEEENSI_IJLi2EEEENSI_IJLi1EEEEEEENS4_IJNSI_IJLi1ELi2EEEENSI_IJLi3ELi4EEEENSI_IJLi5EEEEEEENSI_IJLi3ELi5ELi4EEEElEENS3_INS4_IJNS5_IS6_NS4_IJS8_iEEELb0EEESE_SG_EEENS4_IJSJ_SL_SK_EEESQ_SR_lEENS3_INS4_IJSA_SG_SG_EEESW_NS4_IJSN_NSI_IJLi3EEEENSI_IJLi4EEEEEEESO_lEENS_16tensor_operation12element_wise11PassThroughES15_S15_Li16ELi128ELi4ELi16ELi16ELi4ELi1ELi1ENSI_IJLi16ELi16ELi1EEEENSI_IJLi1ELi0ELi2EEEES17_Li2ELi4ELi4ELb0ELb1ELi4ELb0ELi4ENSI_IJLi0ELi2ELi4ELi5ELi6ELi1ELi3ELi7EEEELi7ELi1EEEffSS_SX_S12_S15_S15_S15_NS_13TensorAdaptorINS4_IJNSB_IS6_Lb0EEES1B_NS_23Merge_v2_magic_divisionINS4_IJiiiiEEEEEEEENS4_IJSJ_SL_NSI_IJLi2ELi3ELi4ELi5EEEEEEENS4_IJNSI_IJLi2ELi4EEEENSI_IJLi3ELi5EEEENSI_IJLi6EEEEEEENSI_IJLi0ELi1EEEES1K_EELb0EEEvPKT0_S1Q_PT1_T2_T3_T4_T5_T6_T7_T8_
	.p2align	8
	.type	_ZN2ck32kernel_gemm_xdlops_skip_b_lds_v1INS_48GridwiseGemm_k0mk1_k0nk1_mn_xdlops_skip_b_lds_v1ILi256EfffLNS_25InMemoryDataOperationEnumE0ENS_16TensorDescriptorINS_5TupleIJNS_5EmbedINS4_IJiiEEENS4_IJiNS_17integral_constantIiLi1EEEEEELb0EEENS_7UnMergeINS4_IJiNS7_IiLi4EEEEEELb0EEENS_11PassThroughIiEEEEENS4_IJNS_8SequenceIJLi0EEEENSI_IJLi2EEEENSI_IJLi1EEEEEEENS4_IJNSI_IJLi1ELi2EEEENSI_IJLi3ELi4EEEENSI_IJLi5EEEEEEENSI_IJLi3ELi5ELi4EEEElEENS3_INS4_IJNS5_IS6_NS4_IJS8_iEEELb0EEESE_SG_EEENS4_IJSJ_SL_SK_EEESQ_SR_lEENS3_INS4_IJSA_SG_SG_EEESW_NS4_IJSN_NSI_IJLi3EEEENSI_IJLi4EEEEEEESO_lEENS_16tensor_operation12element_wise11PassThroughES15_S15_Li16ELi128ELi4ELi16ELi16ELi4ELi1ELi1ENSI_IJLi16ELi16ELi1EEEENSI_IJLi1ELi0ELi2EEEES17_Li2ELi4ELi4ELb0ELb1ELi4ELb0ELi4ENSI_IJLi0ELi2ELi4ELi5ELi6ELi1ELi3ELi7EEEELi7ELi1EEEffSS_SX_S12_S15_S15_S15_NS_13TensorAdaptorINS4_IJNSB_IS6_Lb0EEES1B_NS_23Merge_v2_magic_divisionINS4_IJiiiiEEEEEEEENS4_IJSJ_SL_NSI_IJLi2ELi3ELi4ELi5EEEEEEENS4_IJNSI_IJLi2ELi4EEEENSI_IJLi3ELi5EEEENSI_IJLi6EEEEEEENSI_IJLi0ELi1EEEES1K_EELb0EEEvPKT0_S1Q_PT1_T2_T3_T4_T5_T6_T7_T8_,@function
_ZN2ck32kernel_gemm_xdlops_skip_b_lds_v1INS_48GridwiseGemm_k0mk1_k0nk1_mn_xdlops_skip_b_lds_v1ILi256EfffLNS_25InMemoryDataOperationEnumE0ENS_16TensorDescriptorINS_5TupleIJNS_5EmbedINS4_IJiiEEENS4_IJiNS_17integral_constantIiLi1EEEEEELb0EEENS_7UnMergeINS4_IJiNS7_IiLi4EEEEEELb0EEENS_11PassThroughIiEEEEENS4_IJNS_8SequenceIJLi0EEEENSI_IJLi2EEEENSI_IJLi1EEEEEEENS4_IJNSI_IJLi1ELi2EEEENSI_IJLi3ELi4EEEENSI_IJLi5EEEEEEENSI_IJLi3ELi5ELi4EEEElEENS3_INS4_IJNS5_IS6_NS4_IJS8_iEEELb0EEESE_SG_EEENS4_IJSJ_SL_SK_EEESQ_SR_lEENS3_INS4_IJSA_SG_SG_EEESW_NS4_IJSN_NSI_IJLi3EEEENSI_IJLi4EEEEEEESO_lEENS_16tensor_operation12element_wise11PassThroughES15_S15_Li16ELi128ELi4ELi16ELi16ELi4ELi1ELi1ENSI_IJLi16ELi16ELi1EEEENSI_IJLi1ELi0ELi2EEEES17_Li2ELi4ELi4ELb0ELb1ELi4ELb0ELi4ENSI_IJLi0ELi2ELi4ELi5ELi6ELi1ELi3ELi7EEEELi7ELi1EEEffSS_SX_S12_S15_S15_S15_NS_13TensorAdaptorINS4_IJNSB_IS6_Lb0EEES1B_NS_23Merge_v2_magic_divisionINS4_IJiiiiEEEEEEEENS4_IJSJ_SL_NSI_IJLi2ELi3ELi4ELi5EEEEEEENS4_IJNSI_IJLi2ELi4EEEENSI_IJLi3ELi5EEEENSI_IJLi6EEEEEEENSI_IJLi0ELi1EEEES1K_EELb0EEEvPKT0_S1Q_PT1_T2_T3_T4_T5_T6_T7_T8_: ; @_ZN2ck32kernel_gemm_xdlops_skip_b_lds_v1INS_48GridwiseGemm_k0mk1_k0nk1_mn_xdlops_skip_b_lds_v1ILi256EfffLNS_25InMemoryDataOperationEnumE0ENS_16TensorDescriptorINS_5TupleIJNS_5EmbedINS4_IJiiEEENS4_IJiNS_17integral_constantIiLi1EEEEEELb0EEENS_7UnMergeINS4_IJiNS7_IiLi4EEEEEELb0EEENS_11PassThroughIiEEEEENS4_IJNS_8SequenceIJLi0EEEENSI_IJLi2EEEENSI_IJLi1EEEEEEENS4_IJNSI_IJLi1ELi2EEEENSI_IJLi3ELi4EEEENSI_IJLi5EEEEEEENSI_IJLi3ELi5ELi4EEEElEENS3_INS4_IJNS5_IS6_NS4_IJS8_iEEELb0EEESE_SG_EEENS4_IJSJ_SL_SK_EEESQ_SR_lEENS3_INS4_IJSA_SG_SG_EEESW_NS4_IJSN_NSI_IJLi3EEEENSI_IJLi4EEEEEEESO_lEENS_16tensor_operation12element_wise11PassThroughES15_S15_Li16ELi128ELi4ELi16ELi16ELi4ELi1ELi1ENSI_IJLi16ELi16ELi1EEEENSI_IJLi1ELi0ELi2EEEES17_Li2ELi4ELi4ELb0ELb1ELi4ELb0ELi4ENSI_IJLi0ELi2ELi4ELi5ELi6ELi1ELi3ELi7EEEELi7ELi1EEEffSS_SX_S12_S15_S15_S15_NS_13TensorAdaptorINS4_IJNSB_IS6_Lb0EEES1B_NS_23Merge_v2_magic_divisionINS4_IJiiiiEEEEEEEENS4_IJSJ_SL_NSI_IJLi2ELi3ELi4ELi5EEEEEEENS4_IJNSI_IJLi2ELi4EEEENSI_IJLi3ELi5EEEENSI_IJLi6EEEEEEENSI_IJLi0ELi1EEEES1K_EELb0EEEvPKT0_S1Q_PT1_T2_T3_T4_T5_T6_T7_T8_
; %bb.0:
	s_endpgm
	.section	.rodata,"a",@progbits
	.p2align	6, 0x0
	.amdhsa_kernel _ZN2ck32kernel_gemm_xdlops_skip_b_lds_v1INS_48GridwiseGemm_k0mk1_k0nk1_mn_xdlops_skip_b_lds_v1ILi256EfffLNS_25InMemoryDataOperationEnumE0ENS_16TensorDescriptorINS_5TupleIJNS_5EmbedINS4_IJiiEEENS4_IJiNS_17integral_constantIiLi1EEEEEELb0EEENS_7UnMergeINS4_IJiNS7_IiLi4EEEEEELb0EEENS_11PassThroughIiEEEEENS4_IJNS_8SequenceIJLi0EEEENSI_IJLi2EEEENSI_IJLi1EEEEEEENS4_IJNSI_IJLi1ELi2EEEENSI_IJLi3ELi4EEEENSI_IJLi5EEEEEEENSI_IJLi3ELi5ELi4EEEElEENS3_INS4_IJNS5_IS6_NS4_IJS8_iEEELb0EEESE_SG_EEENS4_IJSJ_SL_SK_EEESQ_SR_lEENS3_INS4_IJSA_SG_SG_EEESW_NS4_IJSN_NSI_IJLi3EEEENSI_IJLi4EEEEEEESO_lEENS_16tensor_operation12element_wise11PassThroughES15_S15_Li16ELi128ELi4ELi16ELi16ELi4ELi1ELi1ENSI_IJLi16ELi16ELi1EEEENSI_IJLi1ELi0ELi2EEEES17_Li2ELi4ELi4ELb0ELb1ELi4ELb0ELi4ENSI_IJLi0ELi2ELi4ELi5ELi6ELi1ELi3ELi7EEEELi7ELi1EEEffSS_SX_S12_S15_S15_S15_NS_13TensorAdaptorINS4_IJNSB_IS6_Lb0EEES1B_NS_23Merge_v2_magic_divisionINS4_IJiiiiEEEEEEEENS4_IJSJ_SL_NSI_IJLi2ELi3ELi4ELi5EEEEEEENS4_IJNSI_IJLi2ELi4EEEENSI_IJLi3ELi5EEEENSI_IJLi6EEEEEEENSI_IJLi0ELi1EEEES1K_EELb0EEEvPKT0_S1Q_PT1_T2_T3_T4_T5_T6_T7_T8_
		.amdhsa_group_segment_fixed_size 0
		.amdhsa_private_segment_fixed_size 0
		.amdhsa_kernarg_size 252
		.amdhsa_user_sgpr_count 2
		.amdhsa_user_sgpr_dispatch_ptr 0
		.amdhsa_user_sgpr_queue_ptr 0
		.amdhsa_user_sgpr_kernarg_segment_ptr 1
		.amdhsa_user_sgpr_dispatch_id 0
		.amdhsa_user_sgpr_kernarg_preload_length 0
		.amdhsa_user_sgpr_kernarg_preload_offset 0
		.amdhsa_user_sgpr_private_segment_size 0
		.amdhsa_uses_dynamic_stack 0
		.amdhsa_enable_private_segment 0
		.amdhsa_system_sgpr_workgroup_id_x 1
		.amdhsa_system_sgpr_workgroup_id_y 0
		.amdhsa_system_sgpr_workgroup_id_z 0
		.amdhsa_system_sgpr_workgroup_info 0
		.amdhsa_system_vgpr_workitem_id 0
		.amdhsa_next_free_vgpr 1
		.amdhsa_next_free_sgpr 0
		.amdhsa_accum_offset 4
		.amdhsa_reserve_vcc 0
		.amdhsa_float_round_mode_32 0
		.amdhsa_float_round_mode_16_64 0
		.amdhsa_float_denorm_mode_32 3
		.amdhsa_float_denorm_mode_16_64 3
		.amdhsa_dx10_clamp 1
		.amdhsa_ieee_mode 1
		.amdhsa_fp16_overflow 0
		.amdhsa_tg_split 0
		.amdhsa_exception_fp_ieee_invalid_op 0
		.amdhsa_exception_fp_denorm_src 0
		.amdhsa_exception_fp_ieee_div_zero 0
		.amdhsa_exception_fp_ieee_overflow 0
		.amdhsa_exception_fp_ieee_underflow 0
		.amdhsa_exception_fp_ieee_inexact 0
		.amdhsa_exception_int_div_zero 0
	.end_amdhsa_kernel
	.section	.text._ZN2ck32kernel_gemm_xdlops_skip_b_lds_v1INS_48GridwiseGemm_k0mk1_k0nk1_mn_xdlops_skip_b_lds_v1ILi256EfffLNS_25InMemoryDataOperationEnumE0ENS_16TensorDescriptorINS_5TupleIJNS_5EmbedINS4_IJiiEEENS4_IJiNS_17integral_constantIiLi1EEEEEELb0EEENS_7UnMergeINS4_IJiNS7_IiLi4EEEEEELb0EEENS_11PassThroughIiEEEEENS4_IJNS_8SequenceIJLi0EEEENSI_IJLi2EEEENSI_IJLi1EEEEEEENS4_IJNSI_IJLi1ELi2EEEENSI_IJLi3ELi4EEEENSI_IJLi5EEEEEEENSI_IJLi3ELi5ELi4EEEElEENS3_INS4_IJNS5_IS6_NS4_IJS8_iEEELb0EEESE_SG_EEENS4_IJSJ_SL_SK_EEESQ_SR_lEENS3_INS4_IJSA_SG_SG_EEESW_NS4_IJSN_NSI_IJLi3EEEENSI_IJLi4EEEEEEESO_lEENS_16tensor_operation12element_wise11PassThroughES15_S15_Li16ELi128ELi4ELi16ELi16ELi4ELi1ELi1ENSI_IJLi16ELi16ELi1EEEENSI_IJLi1ELi0ELi2EEEES17_Li2ELi4ELi4ELb0ELb1ELi4ELb0ELi4ENSI_IJLi0ELi2ELi4ELi5ELi6ELi1ELi3ELi7EEEELi7ELi1EEEffSS_SX_S12_S15_S15_S15_NS_13TensorAdaptorINS4_IJNSB_IS6_Lb0EEES1B_NS_23Merge_v2_magic_divisionINS4_IJiiiiEEEEEEEENS4_IJSJ_SL_NSI_IJLi2ELi3ELi4ELi5EEEEEEENS4_IJNSI_IJLi2ELi4EEEENSI_IJLi3ELi5EEEENSI_IJLi6EEEEEEENSI_IJLi0ELi1EEEES1K_EELb0EEEvPKT0_S1Q_PT1_T2_T3_T4_T5_T6_T7_T8_,"axG",@progbits,_ZN2ck32kernel_gemm_xdlops_skip_b_lds_v1INS_48GridwiseGemm_k0mk1_k0nk1_mn_xdlops_skip_b_lds_v1ILi256EfffLNS_25InMemoryDataOperationEnumE0ENS_16TensorDescriptorINS_5TupleIJNS_5EmbedINS4_IJiiEEENS4_IJiNS_17integral_constantIiLi1EEEEEELb0EEENS_7UnMergeINS4_IJiNS7_IiLi4EEEEEELb0EEENS_11PassThroughIiEEEEENS4_IJNS_8SequenceIJLi0EEEENSI_IJLi2EEEENSI_IJLi1EEEEEEENS4_IJNSI_IJLi1ELi2EEEENSI_IJLi3ELi4EEEENSI_IJLi5EEEEEEENSI_IJLi3ELi5ELi4EEEElEENS3_INS4_IJNS5_IS6_NS4_IJS8_iEEELb0EEESE_SG_EEENS4_IJSJ_SL_SK_EEESQ_SR_lEENS3_INS4_IJSA_SG_SG_EEESW_NS4_IJSN_NSI_IJLi3EEEENSI_IJLi4EEEEEEESO_lEENS_16tensor_operation12element_wise11PassThroughES15_S15_Li16ELi128ELi4ELi16ELi16ELi4ELi1ELi1ENSI_IJLi16ELi16ELi1EEEENSI_IJLi1ELi0ELi2EEEES17_Li2ELi4ELi4ELb0ELb1ELi4ELb0ELi4ENSI_IJLi0ELi2ELi4ELi5ELi6ELi1ELi3ELi7EEEELi7ELi1EEEffSS_SX_S12_S15_S15_S15_NS_13TensorAdaptorINS4_IJNSB_IS6_Lb0EEES1B_NS_23Merge_v2_magic_divisionINS4_IJiiiiEEEEEEEENS4_IJSJ_SL_NSI_IJLi2ELi3ELi4ELi5EEEEEEENS4_IJNSI_IJLi2ELi4EEEENSI_IJLi3ELi5EEEENSI_IJLi6EEEEEEENSI_IJLi0ELi1EEEES1K_EELb0EEEvPKT0_S1Q_PT1_T2_T3_T4_T5_T6_T7_T8_,comdat
.Lfunc_end4:
	.size	_ZN2ck32kernel_gemm_xdlops_skip_b_lds_v1INS_48GridwiseGemm_k0mk1_k0nk1_mn_xdlops_skip_b_lds_v1ILi256EfffLNS_25InMemoryDataOperationEnumE0ENS_16TensorDescriptorINS_5TupleIJNS_5EmbedINS4_IJiiEEENS4_IJiNS_17integral_constantIiLi1EEEEEELb0EEENS_7UnMergeINS4_IJiNS7_IiLi4EEEEEELb0EEENS_11PassThroughIiEEEEENS4_IJNS_8SequenceIJLi0EEEENSI_IJLi2EEEENSI_IJLi1EEEEEEENS4_IJNSI_IJLi1ELi2EEEENSI_IJLi3ELi4EEEENSI_IJLi5EEEEEEENSI_IJLi3ELi5ELi4EEEElEENS3_INS4_IJNS5_IS6_NS4_IJS8_iEEELb0EEESE_SG_EEENS4_IJSJ_SL_SK_EEESQ_SR_lEENS3_INS4_IJSA_SG_SG_EEESW_NS4_IJSN_NSI_IJLi3EEEENSI_IJLi4EEEEEEESO_lEENS_16tensor_operation12element_wise11PassThroughES15_S15_Li16ELi128ELi4ELi16ELi16ELi4ELi1ELi1ENSI_IJLi16ELi16ELi1EEEENSI_IJLi1ELi0ELi2EEEES17_Li2ELi4ELi4ELb0ELb1ELi4ELb0ELi4ENSI_IJLi0ELi2ELi4ELi5ELi6ELi1ELi3ELi7EEEELi7ELi1EEEffSS_SX_S12_S15_S15_S15_NS_13TensorAdaptorINS4_IJNSB_IS6_Lb0EEES1B_NS_23Merge_v2_magic_divisionINS4_IJiiiiEEEEEEEENS4_IJSJ_SL_NSI_IJLi2ELi3ELi4ELi5EEEEEEENS4_IJNSI_IJLi2ELi4EEEENSI_IJLi3ELi5EEEENSI_IJLi6EEEEEEENSI_IJLi0ELi1EEEES1K_EELb0EEEvPKT0_S1Q_PT1_T2_T3_T4_T5_T6_T7_T8_, .Lfunc_end4-_ZN2ck32kernel_gemm_xdlops_skip_b_lds_v1INS_48GridwiseGemm_k0mk1_k0nk1_mn_xdlops_skip_b_lds_v1ILi256EfffLNS_25InMemoryDataOperationEnumE0ENS_16TensorDescriptorINS_5TupleIJNS_5EmbedINS4_IJiiEEENS4_IJiNS_17integral_constantIiLi1EEEEEELb0EEENS_7UnMergeINS4_IJiNS7_IiLi4EEEEEELb0EEENS_11PassThroughIiEEEEENS4_IJNS_8SequenceIJLi0EEEENSI_IJLi2EEEENSI_IJLi1EEEEEEENS4_IJNSI_IJLi1ELi2EEEENSI_IJLi3ELi4EEEENSI_IJLi5EEEEEEENSI_IJLi3ELi5ELi4EEEElEENS3_INS4_IJNS5_IS6_NS4_IJS8_iEEELb0EEESE_SG_EEENS4_IJSJ_SL_SK_EEESQ_SR_lEENS3_INS4_IJSA_SG_SG_EEESW_NS4_IJSN_NSI_IJLi3EEEENSI_IJLi4EEEEEEESO_lEENS_16tensor_operation12element_wise11PassThroughES15_S15_Li16ELi128ELi4ELi16ELi16ELi4ELi1ELi1ENSI_IJLi16ELi16ELi1EEEENSI_IJLi1ELi0ELi2EEEES17_Li2ELi4ELi4ELb0ELb1ELi4ELb0ELi4ENSI_IJLi0ELi2ELi4ELi5ELi6ELi1ELi3ELi7EEEELi7ELi1EEEffSS_SX_S12_S15_S15_S15_NS_13TensorAdaptorINS4_IJNSB_IS6_Lb0EEES1B_NS_23Merge_v2_magic_divisionINS4_IJiiiiEEEEEEEENS4_IJSJ_SL_NSI_IJLi2ELi3ELi4ELi5EEEEEEENS4_IJNSI_IJLi2ELi4EEEENSI_IJLi3ELi5EEEENSI_IJLi6EEEEEEENSI_IJLi0ELi1EEEES1K_EELb0EEEvPKT0_S1Q_PT1_T2_T3_T4_T5_T6_T7_T8_
                                        ; -- End function
	.set _ZN2ck32kernel_gemm_xdlops_skip_b_lds_v1INS_48GridwiseGemm_k0mk1_k0nk1_mn_xdlops_skip_b_lds_v1ILi256EfffLNS_25InMemoryDataOperationEnumE0ENS_16TensorDescriptorINS_5TupleIJNS_5EmbedINS4_IJiiEEENS4_IJiNS_17integral_constantIiLi1EEEEEELb0EEENS_7UnMergeINS4_IJiNS7_IiLi4EEEEEELb0EEENS_11PassThroughIiEEEEENS4_IJNS_8SequenceIJLi0EEEENSI_IJLi2EEEENSI_IJLi1EEEEEEENS4_IJNSI_IJLi1ELi2EEEENSI_IJLi3ELi4EEEENSI_IJLi5EEEEEEENSI_IJLi3ELi5ELi4EEEElEENS3_INS4_IJNS5_IS6_NS4_IJS8_iEEELb0EEESE_SG_EEENS4_IJSJ_SL_SK_EEESQ_SR_lEENS3_INS4_IJSA_SG_SG_EEESW_NS4_IJSN_NSI_IJLi3EEEENSI_IJLi4EEEEEEESO_lEENS_16tensor_operation12element_wise11PassThroughES15_S15_Li16ELi128ELi4ELi16ELi16ELi4ELi1ELi1ENSI_IJLi16ELi16ELi1EEEENSI_IJLi1ELi0ELi2EEEES17_Li2ELi4ELi4ELb0ELb1ELi4ELb0ELi4ENSI_IJLi0ELi2ELi4ELi5ELi6ELi1ELi3ELi7EEEELi7ELi1EEEffSS_SX_S12_S15_S15_S15_NS_13TensorAdaptorINS4_IJNSB_IS6_Lb0EEES1B_NS_23Merge_v2_magic_divisionINS4_IJiiiiEEEEEEEENS4_IJSJ_SL_NSI_IJLi2ELi3ELi4ELi5EEEEEEENS4_IJNSI_IJLi2ELi4EEEENSI_IJLi3ELi5EEEENSI_IJLi6EEEEEEENSI_IJLi0ELi1EEEES1K_EELb0EEEvPKT0_S1Q_PT1_T2_T3_T4_T5_T6_T7_T8_.num_vgpr, 0
	.set _ZN2ck32kernel_gemm_xdlops_skip_b_lds_v1INS_48GridwiseGemm_k0mk1_k0nk1_mn_xdlops_skip_b_lds_v1ILi256EfffLNS_25InMemoryDataOperationEnumE0ENS_16TensorDescriptorINS_5TupleIJNS_5EmbedINS4_IJiiEEENS4_IJiNS_17integral_constantIiLi1EEEEEELb0EEENS_7UnMergeINS4_IJiNS7_IiLi4EEEEEELb0EEENS_11PassThroughIiEEEEENS4_IJNS_8SequenceIJLi0EEEENSI_IJLi2EEEENSI_IJLi1EEEEEEENS4_IJNSI_IJLi1ELi2EEEENSI_IJLi3ELi4EEEENSI_IJLi5EEEEEEENSI_IJLi3ELi5ELi4EEEElEENS3_INS4_IJNS5_IS6_NS4_IJS8_iEEELb0EEESE_SG_EEENS4_IJSJ_SL_SK_EEESQ_SR_lEENS3_INS4_IJSA_SG_SG_EEESW_NS4_IJSN_NSI_IJLi3EEEENSI_IJLi4EEEEEEESO_lEENS_16tensor_operation12element_wise11PassThroughES15_S15_Li16ELi128ELi4ELi16ELi16ELi4ELi1ELi1ENSI_IJLi16ELi16ELi1EEEENSI_IJLi1ELi0ELi2EEEES17_Li2ELi4ELi4ELb0ELb1ELi4ELb0ELi4ENSI_IJLi0ELi2ELi4ELi5ELi6ELi1ELi3ELi7EEEELi7ELi1EEEffSS_SX_S12_S15_S15_S15_NS_13TensorAdaptorINS4_IJNSB_IS6_Lb0EEES1B_NS_23Merge_v2_magic_divisionINS4_IJiiiiEEEEEEEENS4_IJSJ_SL_NSI_IJLi2ELi3ELi4ELi5EEEEEEENS4_IJNSI_IJLi2ELi4EEEENSI_IJLi3ELi5EEEENSI_IJLi6EEEEEEENSI_IJLi0ELi1EEEES1K_EELb0EEEvPKT0_S1Q_PT1_T2_T3_T4_T5_T6_T7_T8_.num_agpr, 0
	.set _ZN2ck32kernel_gemm_xdlops_skip_b_lds_v1INS_48GridwiseGemm_k0mk1_k0nk1_mn_xdlops_skip_b_lds_v1ILi256EfffLNS_25InMemoryDataOperationEnumE0ENS_16TensorDescriptorINS_5TupleIJNS_5EmbedINS4_IJiiEEENS4_IJiNS_17integral_constantIiLi1EEEEEELb0EEENS_7UnMergeINS4_IJiNS7_IiLi4EEEEEELb0EEENS_11PassThroughIiEEEEENS4_IJNS_8SequenceIJLi0EEEENSI_IJLi2EEEENSI_IJLi1EEEEEEENS4_IJNSI_IJLi1ELi2EEEENSI_IJLi3ELi4EEEENSI_IJLi5EEEEEEENSI_IJLi3ELi5ELi4EEEElEENS3_INS4_IJNS5_IS6_NS4_IJS8_iEEELb0EEESE_SG_EEENS4_IJSJ_SL_SK_EEESQ_SR_lEENS3_INS4_IJSA_SG_SG_EEESW_NS4_IJSN_NSI_IJLi3EEEENSI_IJLi4EEEEEEESO_lEENS_16tensor_operation12element_wise11PassThroughES15_S15_Li16ELi128ELi4ELi16ELi16ELi4ELi1ELi1ENSI_IJLi16ELi16ELi1EEEENSI_IJLi1ELi0ELi2EEEES17_Li2ELi4ELi4ELb0ELb1ELi4ELb0ELi4ENSI_IJLi0ELi2ELi4ELi5ELi6ELi1ELi3ELi7EEEELi7ELi1EEEffSS_SX_S12_S15_S15_S15_NS_13TensorAdaptorINS4_IJNSB_IS6_Lb0EEES1B_NS_23Merge_v2_magic_divisionINS4_IJiiiiEEEEEEEENS4_IJSJ_SL_NSI_IJLi2ELi3ELi4ELi5EEEEEEENS4_IJNSI_IJLi2ELi4EEEENSI_IJLi3ELi5EEEENSI_IJLi6EEEEEEENSI_IJLi0ELi1EEEES1K_EELb0EEEvPKT0_S1Q_PT1_T2_T3_T4_T5_T6_T7_T8_.numbered_sgpr, 0
	.set _ZN2ck32kernel_gemm_xdlops_skip_b_lds_v1INS_48GridwiseGemm_k0mk1_k0nk1_mn_xdlops_skip_b_lds_v1ILi256EfffLNS_25InMemoryDataOperationEnumE0ENS_16TensorDescriptorINS_5TupleIJNS_5EmbedINS4_IJiiEEENS4_IJiNS_17integral_constantIiLi1EEEEEELb0EEENS_7UnMergeINS4_IJiNS7_IiLi4EEEEEELb0EEENS_11PassThroughIiEEEEENS4_IJNS_8SequenceIJLi0EEEENSI_IJLi2EEEENSI_IJLi1EEEEEEENS4_IJNSI_IJLi1ELi2EEEENSI_IJLi3ELi4EEEENSI_IJLi5EEEEEEENSI_IJLi3ELi5ELi4EEEElEENS3_INS4_IJNS5_IS6_NS4_IJS8_iEEELb0EEESE_SG_EEENS4_IJSJ_SL_SK_EEESQ_SR_lEENS3_INS4_IJSA_SG_SG_EEESW_NS4_IJSN_NSI_IJLi3EEEENSI_IJLi4EEEEEEESO_lEENS_16tensor_operation12element_wise11PassThroughES15_S15_Li16ELi128ELi4ELi16ELi16ELi4ELi1ELi1ENSI_IJLi16ELi16ELi1EEEENSI_IJLi1ELi0ELi2EEEES17_Li2ELi4ELi4ELb0ELb1ELi4ELb0ELi4ENSI_IJLi0ELi2ELi4ELi5ELi6ELi1ELi3ELi7EEEELi7ELi1EEEffSS_SX_S12_S15_S15_S15_NS_13TensorAdaptorINS4_IJNSB_IS6_Lb0EEES1B_NS_23Merge_v2_magic_divisionINS4_IJiiiiEEEEEEEENS4_IJSJ_SL_NSI_IJLi2ELi3ELi4ELi5EEEEEEENS4_IJNSI_IJLi2ELi4EEEENSI_IJLi3ELi5EEEENSI_IJLi6EEEEEEENSI_IJLi0ELi1EEEES1K_EELb0EEEvPKT0_S1Q_PT1_T2_T3_T4_T5_T6_T7_T8_.num_named_barrier, 0
	.set _ZN2ck32kernel_gemm_xdlops_skip_b_lds_v1INS_48GridwiseGemm_k0mk1_k0nk1_mn_xdlops_skip_b_lds_v1ILi256EfffLNS_25InMemoryDataOperationEnumE0ENS_16TensorDescriptorINS_5TupleIJNS_5EmbedINS4_IJiiEEENS4_IJiNS_17integral_constantIiLi1EEEEEELb0EEENS_7UnMergeINS4_IJiNS7_IiLi4EEEEEELb0EEENS_11PassThroughIiEEEEENS4_IJNS_8SequenceIJLi0EEEENSI_IJLi2EEEENSI_IJLi1EEEEEEENS4_IJNSI_IJLi1ELi2EEEENSI_IJLi3ELi4EEEENSI_IJLi5EEEEEEENSI_IJLi3ELi5ELi4EEEElEENS3_INS4_IJNS5_IS6_NS4_IJS8_iEEELb0EEESE_SG_EEENS4_IJSJ_SL_SK_EEESQ_SR_lEENS3_INS4_IJSA_SG_SG_EEESW_NS4_IJSN_NSI_IJLi3EEEENSI_IJLi4EEEEEEESO_lEENS_16tensor_operation12element_wise11PassThroughES15_S15_Li16ELi128ELi4ELi16ELi16ELi4ELi1ELi1ENSI_IJLi16ELi16ELi1EEEENSI_IJLi1ELi0ELi2EEEES17_Li2ELi4ELi4ELb0ELb1ELi4ELb0ELi4ENSI_IJLi0ELi2ELi4ELi5ELi6ELi1ELi3ELi7EEEELi7ELi1EEEffSS_SX_S12_S15_S15_S15_NS_13TensorAdaptorINS4_IJNSB_IS6_Lb0EEES1B_NS_23Merge_v2_magic_divisionINS4_IJiiiiEEEEEEEENS4_IJSJ_SL_NSI_IJLi2ELi3ELi4ELi5EEEEEEENS4_IJNSI_IJLi2ELi4EEEENSI_IJLi3ELi5EEEENSI_IJLi6EEEEEEENSI_IJLi0ELi1EEEES1K_EELb0EEEvPKT0_S1Q_PT1_T2_T3_T4_T5_T6_T7_T8_.private_seg_size, 0
	.set _ZN2ck32kernel_gemm_xdlops_skip_b_lds_v1INS_48GridwiseGemm_k0mk1_k0nk1_mn_xdlops_skip_b_lds_v1ILi256EfffLNS_25InMemoryDataOperationEnumE0ENS_16TensorDescriptorINS_5TupleIJNS_5EmbedINS4_IJiiEEENS4_IJiNS_17integral_constantIiLi1EEEEEELb0EEENS_7UnMergeINS4_IJiNS7_IiLi4EEEEEELb0EEENS_11PassThroughIiEEEEENS4_IJNS_8SequenceIJLi0EEEENSI_IJLi2EEEENSI_IJLi1EEEEEEENS4_IJNSI_IJLi1ELi2EEEENSI_IJLi3ELi4EEEENSI_IJLi5EEEEEEENSI_IJLi3ELi5ELi4EEEElEENS3_INS4_IJNS5_IS6_NS4_IJS8_iEEELb0EEESE_SG_EEENS4_IJSJ_SL_SK_EEESQ_SR_lEENS3_INS4_IJSA_SG_SG_EEESW_NS4_IJSN_NSI_IJLi3EEEENSI_IJLi4EEEEEEESO_lEENS_16tensor_operation12element_wise11PassThroughES15_S15_Li16ELi128ELi4ELi16ELi16ELi4ELi1ELi1ENSI_IJLi16ELi16ELi1EEEENSI_IJLi1ELi0ELi2EEEES17_Li2ELi4ELi4ELb0ELb1ELi4ELb0ELi4ENSI_IJLi0ELi2ELi4ELi5ELi6ELi1ELi3ELi7EEEELi7ELi1EEEffSS_SX_S12_S15_S15_S15_NS_13TensorAdaptorINS4_IJNSB_IS6_Lb0EEES1B_NS_23Merge_v2_magic_divisionINS4_IJiiiiEEEEEEEENS4_IJSJ_SL_NSI_IJLi2ELi3ELi4ELi5EEEEEEENS4_IJNSI_IJLi2ELi4EEEENSI_IJLi3ELi5EEEENSI_IJLi6EEEEEEENSI_IJLi0ELi1EEEES1K_EELb0EEEvPKT0_S1Q_PT1_T2_T3_T4_T5_T6_T7_T8_.uses_vcc, 0
	.set _ZN2ck32kernel_gemm_xdlops_skip_b_lds_v1INS_48GridwiseGemm_k0mk1_k0nk1_mn_xdlops_skip_b_lds_v1ILi256EfffLNS_25InMemoryDataOperationEnumE0ENS_16TensorDescriptorINS_5TupleIJNS_5EmbedINS4_IJiiEEENS4_IJiNS_17integral_constantIiLi1EEEEEELb0EEENS_7UnMergeINS4_IJiNS7_IiLi4EEEEEELb0EEENS_11PassThroughIiEEEEENS4_IJNS_8SequenceIJLi0EEEENSI_IJLi2EEEENSI_IJLi1EEEEEEENS4_IJNSI_IJLi1ELi2EEEENSI_IJLi3ELi4EEEENSI_IJLi5EEEEEEENSI_IJLi3ELi5ELi4EEEElEENS3_INS4_IJNS5_IS6_NS4_IJS8_iEEELb0EEESE_SG_EEENS4_IJSJ_SL_SK_EEESQ_SR_lEENS3_INS4_IJSA_SG_SG_EEESW_NS4_IJSN_NSI_IJLi3EEEENSI_IJLi4EEEEEEESO_lEENS_16tensor_operation12element_wise11PassThroughES15_S15_Li16ELi128ELi4ELi16ELi16ELi4ELi1ELi1ENSI_IJLi16ELi16ELi1EEEENSI_IJLi1ELi0ELi2EEEES17_Li2ELi4ELi4ELb0ELb1ELi4ELb0ELi4ENSI_IJLi0ELi2ELi4ELi5ELi6ELi1ELi3ELi7EEEELi7ELi1EEEffSS_SX_S12_S15_S15_S15_NS_13TensorAdaptorINS4_IJNSB_IS6_Lb0EEES1B_NS_23Merge_v2_magic_divisionINS4_IJiiiiEEEEEEEENS4_IJSJ_SL_NSI_IJLi2ELi3ELi4ELi5EEEEEEENS4_IJNSI_IJLi2ELi4EEEENSI_IJLi3ELi5EEEENSI_IJLi6EEEEEEENSI_IJLi0ELi1EEEES1K_EELb0EEEvPKT0_S1Q_PT1_T2_T3_T4_T5_T6_T7_T8_.uses_flat_scratch, 0
	.set _ZN2ck32kernel_gemm_xdlops_skip_b_lds_v1INS_48GridwiseGemm_k0mk1_k0nk1_mn_xdlops_skip_b_lds_v1ILi256EfffLNS_25InMemoryDataOperationEnumE0ENS_16TensorDescriptorINS_5TupleIJNS_5EmbedINS4_IJiiEEENS4_IJiNS_17integral_constantIiLi1EEEEEELb0EEENS_7UnMergeINS4_IJiNS7_IiLi4EEEEEELb0EEENS_11PassThroughIiEEEEENS4_IJNS_8SequenceIJLi0EEEENSI_IJLi2EEEENSI_IJLi1EEEEEEENS4_IJNSI_IJLi1ELi2EEEENSI_IJLi3ELi4EEEENSI_IJLi5EEEEEEENSI_IJLi3ELi5ELi4EEEElEENS3_INS4_IJNS5_IS6_NS4_IJS8_iEEELb0EEESE_SG_EEENS4_IJSJ_SL_SK_EEESQ_SR_lEENS3_INS4_IJSA_SG_SG_EEESW_NS4_IJSN_NSI_IJLi3EEEENSI_IJLi4EEEEEEESO_lEENS_16tensor_operation12element_wise11PassThroughES15_S15_Li16ELi128ELi4ELi16ELi16ELi4ELi1ELi1ENSI_IJLi16ELi16ELi1EEEENSI_IJLi1ELi0ELi2EEEES17_Li2ELi4ELi4ELb0ELb1ELi4ELb0ELi4ENSI_IJLi0ELi2ELi4ELi5ELi6ELi1ELi3ELi7EEEELi7ELi1EEEffSS_SX_S12_S15_S15_S15_NS_13TensorAdaptorINS4_IJNSB_IS6_Lb0EEES1B_NS_23Merge_v2_magic_divisionINS4_IJiiiiEEEEEEEENS4_IJSJ_SL_NSI_IJLi2ELi3ELi4ELi5EEEEEEENS4_IJNSI_IJLi2ELi4EEEENSI_IJLi3ELi5EEEENSI_IJLi6EEEEEEENSI_IJLi0ELi1EEEES1K_EELb0EEEvPKT0_S1Q_PT1_T2_T3_T4_T5_T6_T7_T8_.has_dyn_sized_stack, 0
	.set _ZN2ck32kernel_gemm_xdlops_skip_b_lds_v1INS_48GridwiseGemm_k0mk1_k0nk1_mn_xdlops_skip_b_lds_v1ILi256EfffLNS_25InMemoryDataOperationEnumE0ENS_16TensorDescriptorINS_5TupleIJNS_5EmbedINS4_IJiiEEENS4_IJiNS_17integral_constantIiLi1EEEEEELb0EEENS_7UnMergeINS4_IJiNS7_IiLi4EEEEEELb0EEENS_11PassThroughIiEEEEENS4_IJNS_8SequenceIJLi0EEEENSI_IJLi2EEEENSI_IJLi1EEEEEEENS4_IJNSI_IJLi1ELi2EEEENSI_IJLi3ELi4EEEENSI_IJLi5EEEEEEENSI_IJLi3ELi5ELi4EEEElEENS3_INS4_IJNS5_IS6_NS4_IJS8_iEEELb0EEESE_SG_EEENS4_IJSJ_SL_SK_EEESQ_SR_lEENS3_INS4_IJSA_SG_SG_EEESW_NS4_IJSN_NSI_IJLi3EEEENSI_IJLi4EEEEEEESO_lEENS_16tensor_operation12element_wise11PassThroughES15_S15_Li16ELi128ELi4ELi16ELi16ELi4ELi1ELi1ENSI_IJLi16ELi16ELi1EEEENSI_IJLi1ELi0ELi2EEEES17_Li2ELi4ELi4ELb0ELb1ELi4ELb0ELi4ENSI_IJLi0ELi2ELi4ELi5ELi6ELi1ELi3ELi7EEEELi7ELi1EEEffSS_SX_S12_S15_S15_S15_NS_13TensorAdaptorINS4_IJNSB_IS6_Lb0EEES1B_NS_23Merge_v2_magic_divisionINS4_IJiiiiEEEEEEEENS4_IJSJ_SL_NSI_IJLi2ELi3ELi4ELi5EEEEEEENS4_IJNSI_IJLi2ELi4EEEENSI_IJLi3ELi5EEEENSI_IJLi6EEEEEEENSI_IJLi0ELi1EEEES1K_EELb0EEEvPKT0_S1Q_PT1_T2_T3_T4_T5_T6_T7_T8_.has_recursion, 0
	.set _ZN2ck32kernel_gemm_xdlops_skip_b_lds_v1INS_48GridwiseGemm_k0mk1_k0nk1_mn_xdlops_skip_b_lds_v1ILi256EfffLNS_25InMemoryDataOperationEnumE0ENS_16TensorDescriptorINS_5TupleIJNS_5EmbedINS4_IJiiEEENS4_IJiNS_17integral_constantIiLi1EEEEEELb0EEENS_7UnMergeINS4_IJiNS7_IiLi4EEEEEELb0EEENS_11PassThroughIiEEEEENS4_IJNS_8SequenceIJLi0EEEENSI_IJLi2EEEENSI_IJLi1EEEEEEENS4_IJNSI_IJLi1ELi2EEEENSI_IJLi3ELi4EEEENSI_IJLi5EEEEEEENSI_IJLi3ELi5ELi4EEEElEENS3_INS4_IJNS5_IS6_NS4_IJS8_iEEELb0EEESE_SG_EEENS4_IJSJ_SL_SK_EEESQ_SR_lEENS3_INS4_IJSA_SG_SG_EEESW_NS4_IJSN_NSI_IJLi3EEEENSI_IJLi4EEEEEEESO_lEENS_16tensor_operation12element_wise11PassThroughES15_S15_Li16ELi128ELi4ELi16ELi16ELi4ELi1ELi1ENSI_IJLi16ELi16ELi1EEEENSI_IJLi1ELi0ELi2EEEES17_Li2ELi4ELi4ELb0ELb1ELi4ELb0ELi4ENSI_IJLi0ELi2ELi4ELi5ELi6ELi1ELi3ELi7EEEELi7ELi1EEEffSS_SX_S12_S15_S15_S15_NS_13TensorAdaptorINS4_IJNSB_IS6_Lb0EEES1B_NS_23Merge_v2_magic_divisionINS4_IJiiiiEEEEEEEENS4_IJSJ_SL_NSI_IJLi2ELi3ELi4ELi5EEEEEEENS4_IJNSI_IJLi2ELi4EEEENSI_IJLi3ELi5EEEENSI_IJLi6EEEEEEENSI_IJLi0ELi1EEEES1K_EELb0EEEvPKT0_S1Q_PT1_T2_T3_T4_T5_T6_T7_T8_.has_indirect_call, 0
	.section	.AMDGPU.csdata,"",@progbits
; Kernel info:
; codeLenInByte = 4
; TotalNumSgprs: 6
; NumVgprs: 0
; NumAgprs: 0
; TotalNumVgprs: 0
; ScratchSize: 0
; MemoryBound: 0
; FloatMode: 240
; IeeeMode: 1
; LDSByteSize: 0 bytes/workgroup (compile time only)
; SGPRBlocks: 0
; VGPRBlocks: 0
; NumSGPRsForWavesPerEU: 6
; NumVGPRsForWavesPerEU: 1
; AccumOffset: 4
; Occupancy: 8
; WaveLimiterHint : 0
; COMPUTE_PGM_RSRC2:SCRATCH_EN: 0
; COMPUTE_PGM_RSRC2:USER_SGPR: 2
; COMPUTE_PGM_RSRC2:TRAP_HANDLER: 0
; COMPUTE_PGM_RSRC2:TGID_X_EN: 1
; COMPUTE_PGM_RSRC2:TGID_Y_EN: 0
; COMPUTE_PGM_RSRC2:TGID_Z_EN: 0
; COMPUTE_PGM_RSRC2:TIDIG_COMP_CNT: 0
; COMPUTE_PGM_RSRC3_GFX90A:ACCUM_OFFSET: 0
; COMPUTE_PGM_RSRC3_GFX90A:TG_SPLIT: 0
	.section	.AMDGPU.gpr_maximums,"",@progbits
	.set amdgpu.max_num_vgpr, 0
	.set amdgpu.max_num_agpr, 0
	.set amdgpu.max_num_sgpr, 0
	.section	.AMDGPU.csdata,"",@progbits
	.protected	_ZN2ck53BlockwiseGemmXdlops_k0mk1_k0nk1_m0n0m1n1m2m3m4n2_v1r1ILi256EffKNS_16TensorDescriptorINS_5TupleIJNS_5EmbedINS2_IJNS_17integral_constantIiLi4EEENS4_IiLi16EEES5_EEENS2_IJNS4_IiLi68EEES5_NS4_IiLi1EEEEEELb0EEEEEENS2_IJNS_8SequenceIJLi0EEEEEEENS2_IJNSD_IJLi1ELi2ELi3EEEEEEESG_NS4_IlLl268EEEEEKNS1_INS2_IJNS_7UnMergeINS2_IJS9_S9_S9_S9_NS4_IiLi2EEES9_S9_S5_EEELb0EEEEEESF_NS2_IJNSD_IJLi1ELi2ELi3ELi4ELi5ELi6ELi7ELi8EEEEEEESQ_NS4_IlLl8EEEEELi16ELi128ELi4ELi16ELi16ELi1ELi2ELi4EE6MWavesE ; @_ZN2ck53BlockwiseGemmXdlops_k0mk1_k0nk1_m0n0m1n1m2m3m4n2_v1r1ILi256EffKNS_16TensorDescriptorINS_5TupleIJNS_5EmbedINS2_IJNS_17integral_constantIiLi4EEENS4_IiLi16EEES5_EEENS2_IJNS4_IiLi68EEES5_NS4_IiLi1EEEEEELb0EEEEEENS2_IJNS_8SequenceIJLi0EEEEEEENS2_IJNSD_IJLi1ELi2ELi3EEEEEEESG_NS4_IlLl268EEEEEKNS1_INS2_IJNS_7UnMergeINS2_IJS9_S9_S9_S9_NS4_IiLi2EEES9_S9_S5_EEELb0EEEEEESF_NS2_IJNSD_IJLi1ELi2ELi3ELi4ELi5ELi6ELi7ELi8EEEEEEESQ_NS4_IlLl8EEEEELi16ELi128ELi4ELi16ELi16ELi1ELi2ELi4EE6MWavesE
	.type	_ZN2ck53BlockwiseGemmXdlops_k0mk1_k0nk1_m0n0m1n1m2m3m4n2_v1r1ILi256EffKNS_16TensorDescriptorINS_5TupleIJNS_5EmbedINS2_IJNS_17integral_constantIiLi4EEENS4_IiLi16EEES5_EEENS2_IJNS4_IiLi68EEES5_NS4_IiLi1EEEEEELb0EEEEEENS2_IJNS_8SequenceIJLi0EEEEEEENS2_IJNSD_IJLi1ELi2ELi3EEEEEEESG_NS4_IlLl268EEEEEKNS1_INS2_IJNS_7UnMergeINS2_IJS9_S9_S9_S9_NS4_IiLi2EEES9_S9_S5_EEELb0EEEEEESF_NS2_IJNSD_IJLi1ELi2ELi3ELi4ELi5ELi6ELi7ELi8EEEEEEESQ_NS4_IlLl8EEEEELi16ELi128ELi4ELi16ELi16ELi1ELi2ELi4EE6MWavesE,@object
	.section	.rodata._ZN2ck53BlockwiseGemmXdlops_k0mk1_k0nk1_m0n0m1n1m2m3m4n2_v1r1ILi256EffKNS_16TensorDescriptorINS_5TupleIJNS_5EmbedINS2_IJNS_17integral_constantIiLi4EEENS4_IiLi16EEES5_EEENS2_IJNS4_IiLi68EEES5_NS4_IiLi1EEEEEELb0EEEEEENS2_IJNS_8SequenceIJLi0EEEEEEENS2_IJNSD_IJLi1ELi2ELi3EEEEEEESG_NS4_IlLl268EEEEEKNS1_INS2_IJNS_7UnMergeINS2_IJS9_S9_S9_S9_NS4_IiLi2EEES9_S9_S5_EEELb0EEEEEESF_NS2_IJNSD_IJLi1ELi2ELi3ELi4ELi5ELi6ELi7ELi8EEEEEEESQ_NS4_IlLl8EEEEELi16ELi128ELi4ELi16ELi16ELi1ELi2ELi4EE6MWavesE,"aG",@progbits,_ZN2ck53BlockwiseGemmXdlops_k0mk1_k0nk1_m0n0m1n1m2m3m4n2_v1r1ILi256EffKNS_16TensorDescriptorINS_5TupleIJNS_5EmbedINS2_IJNS_17integral_constantIiLi4EEENS4_IiLi16EEES5_EEENS2_IJNS4_IiLi68EEES5_NS4_IiLi1EEEEEELb0EEEEEENS2_IJNS_8SequenceIJLi0EEEEEEENS2_IJNSD_IJLi1ELi2ELi3EEEEEEESG_NS4_IlLl268EEEEEKNS1_INS2_IJNS_7UnMergeINS2_IJS9_S9_S9_S9_NS4_IiLi2EEES9_S9_S5_EEELb0EEEEEESF_NS2_IJNSD_IJLi1ELi2ELi3ELi4ELi5ELi6ELi7ELi8EEEEEEESQ_NS4_IlLl8EEEEELi16ELi128ELi4ELi16ELi16ELi1ELi2ELi4EE6MWavesE,comdat
	.weak	_ZN2ck53BlockwiseGemmXdlops_k0mk1_k0nk1_m0n0m1n1m2m3m4n2_v1r1ILi256EffKNS_16TensorDescriptorINS_5TupleIJNS_5EmbedINS2_IJNS_17integral_constantIiLi4EEENS4_IiLi16EEES5_EEENS2_IJNS4_IiLi68EEES5_NS4_IiLi1EEEEEELb0EEEEEENS2_IJNS_8SequenceIJLi0EEEEEEENS2_IJNSD_IJLi1ELi2ELi3EEEEEEESG_NS4_IlLl268EEEEEKNS1_INS2_IJNS_7UnMergeINS2_IJS9_S9_S9_S9_NS4_IiLi2EEES9_S9_S5_EEELb0EEEEEESF_NS2_IJNSD_IJLi1ELi2ELi3ELi4ELi5ELi6ELi7ELi8EEEEEEESQ_NS4_IlLl8EEEEELi16ELi128ELi4ELi16ELi16ELi1ELi2ELi4EE6MWavesE
	.p2align	2, 0x0
_ZN2ck53BlockwiseGemmXdlops_k0mk1_k0nk1_m0n0m1n1m2m3m4n2_v1r1ILi256EffKNS_16TensorDescriptorINS_5TupleIJNS_5EmbedINS2_IJNS_17integral_constantIiLi4EEENS4_IiLi16EEES5_EEENS2_IJNS4_IiLi68EEES5_NS4_IiLi1EEEEEELb0EEEEEENS2_IJNS_8SequenceIJLi0EEEEEEENS2_IJNSD_IJLi1ELi2ELi3EEEEEEESG_NS4_IlLl268EEEEEKNS1_INS2_IJNS_7UnMergeINS2_IJS9_S9_S9_S9_NS4_IiLi2EEES9_S9_S5_EEELb0EEEEEESF_NS2_IJNSD_IJLi1ELi2ELi3ELi4ELi5ELi6ELi7ELi8EEEEEEESQ_NS4_IlLl8EEEEELi16ELi128ELi4ELi16ELi16ELi1ELi2ELi4EE6MWavesE:
	.long	1                               ; 0x1
	.size	_ZN2ck53BlockwiseGemmXdlops_k0mk1_k0nk1_m0n0m1n1m2m3m4n2_v1r1ILi256EffKNS_16TensorDescriptorINS_5TupleIJNS_5EmbedINS2_IJNS_17integral_constantIiLi4EEENS4_IiLi16EEES5_EEENS2_IJNS4_IiLi68EEES5_NS4_IiLi1EEEEEELb0EEEEEENS2_IJNS_8SequenceIJLi0EEEEEEENS2_IJNSD_IJLi1ELi2ELi3EEEEEEESG_NS4_IlLl268EEEEEKNS1_INS2_IJNS_7UnMergeINS2_IJS9_S9_S9_S9_NS4_IiLi2EEES9_S9_S5_EEELb0EEEEEESF_NS2_IJNSD_IJLi1ELi2ELi3ELi4ELi5ELi6ELi7ELi8EEEEEEESQ_NS4_IlLl8EEEEELi16ELi128ELi4ELi16ELi16ELi1ELi2ELi4EE6MWavesE, 4

	.protected	_ZN2ck53BlockwiseGemmXdlops_k0mk1_k0nk1_m0n0m1n1m2m3m4n2_v1r1ILi256EffKNS_16TensorDescriptorINS_5TupleIJNS_5EmbedINS2_IJNS_17integral_constantIiLi4EEENS4_IiLi16EEES5_EEENS2_IJNS4_IiLi68EEES5_NS4_IiLi1EEEEEELb0EEEEEENS2_IJNS_8SequenceIJLi0EEEEEEENS2_IJNSD_IJLi1ELi2ELi3EEEEEEESG_NS4_IlLl268EEEEEKNS1_INS2_IJNS_7UnMergeINS2_IJS9_S9_S9_S9_NS4_IiLi2EEES9_S9_S5_EEELb0EEEEEESF_NS2_IJNSD_IJLi1ELi2ELi3ELi4ELi5ELi6ELi7ELi8EEEEEEESQ_NS4_IlLl8EEEEELi16ELi128ELi4ELi16ELi16ELi1ELi2ELi4EE6NWavesE ; @_ZN2ck53BlockwiseGemmXdlops_k0mk1_k0nk1_m0n0m1n1m2m3m4n2_v1r1ILi256EffKNS_16TensorDescriptorINS_5TupleIJNS_5EmbedINS2_IJNS_17integral_constantIiLi4EEENS4_IiLi16EEES5_EEENS2_IJNS4_IiLi68EEES5_NS4_IiLi1EEEEEELb0EEEEEENS2_IJNS_8SequenceIJLi0EEEEEEENS2_IJNSD_IJLi1ELi2ELi3EEEEEEESG_NS4_IlLl268EEEEEKNS1_INS2_IJNS_7UnMergeINS2_IJS9_S9_S9_S9_NS4_IiLi2EEES9_S9_S5_EEELb0EEEEEESF_NS2_IJNSD_IJLi1ELi2ELi3ELi4ELi5ELi6ELi7ELi8EEEEEEESQ_NS4_IlLl8EEEEELi16ELi128ELi4ELi16ELi16ELi1ELi2ELi4EE6NWavesE
	.type	_ZN2ck53BlockwiseGemmXdlops_k0mk1_k0nk1_m0n0m1n1m2m3m4n2_v1r1ILi256EffKNS_16TensorDescriptorINS_5TupleIJNS_5EmbedINS2_IJNS_17integral_constantIiLi4EEENS4_IiLi16EEES5_EEENS2_IJNS4_IiLi68EEES5_NS4_IiLi1EEEEEELb0EEEEEENS2_IJNS_8SequenceIJLi0EEEEEEENS2_IJNSD_IJLi1ELi2ELi3EEEEEEESG_NS4_IlLl268EEEEEKNS1_INS2_IJNS_7UnMergeINS2_IJS9_S9_S9_S9_NS4_IiLi2EEES9_S9_S5_EEELb0EEEEEESF_NS2_IJNSD_IJLi1ELi2ELi3ELi4ELi5ELi6ELi7ELi8EEEEEEESQ_NS4_IlLl8EEEEELi16ELi128ELi4ELi16ELi16ELi1ELi2ELi4EE6NWavesE,@object
	.section	.rodata._ZN2ck53BlockwiseGemmXdlops_k0mk1_k0nk1_m0n0m1n1m2m3m4n2_v1r1ILi256EffKNS_16TensorDescriptorINS_5TupleIJNS_5EmbedINS2_IJNS_17integral_constantIiLi4EEENS4_IiLi16EEES5_EEENS2_IJNS4_IiLi68EEES5_NS4_IiLi1EEEEEELb0EEEEEENS2_IJNS_8SequenceIJLi0EEEEEEENS2_IJNSD_IJLi1ELi2ELi3EEEEEEESG_NS4_IlLl268EEEEEKNS1_INS2_IJNS_7UnMergeINS2_IJS9_S9_S9_S9_NS4_IiLi2EEES9_S9_S5_EEELb0EEEEEESF_NS2_IJNSD_IJLi1ELi2ELi3ELi4ELi5ELi6ELi7ELi8EEEEEEESQ_NS4_IlLl8EEEEELi16ELi128ELi4ELi16ELi16ELi1ELi2ELi4EE6NWavesE,"aG",@progbits,_ZN2ck53BlockwiseGemmXdlops_k0mk1_k0nk1_m0n0m1n1m2m3m4n2_v1r1ILi256EffKNS_16TensorDescriptorINS_5TupleIJNS_5EmbedINS2_IJNS_17integral_constantIiLi4EEENS4_IiLi16EEES5_EEENS2_IJNS4_IiLi68EEES5_NS4_IiLi1EEEEEELb0EEEEEENS2_IJNS_8SequenceIJLi0EEEEEEENS2_IJNSD_IJLi1ELi2ELi3EEEEEEESG_NS4_IlLl268EEEEEKNS1_INS2_IJNS_7UnMergeINS2_IJS9_S9_S9_S9_NS4_IiLi2EEES9_S9_S5_EEELb0EEEEEESF_NS2_IJNSD_IJLi1ELi2ELi3ELi4ELi5ELi6ELi7ELi8EEEEEEESQ_NS4_IlLl8EEEEELi16ELi128ELi4ELi16ELi16ELi1ELi2ELi4EE6NWavesE,comdat
	.weak	_ZN2ck53BlockwiseGemmXdlops_k0mk1_k0nk1_m0n0m1n1m2m3m4n2_v1r1ILi256EffKNS_16TensorDescriptorINS_5TupleIJNS_5EmbedINS2_IJNS_17integral_constantIiLi4EEENS4_IiLi16EEES5_EEENS2_IJNS4_IiLi68EEES5_NS4_IiLi1EEEEEELb0EEEEEENS2_IJNS_8SequenceIJLi0EEEEEEENS2_IJNSD_IJLi1ELi2ELi3EEEEEEESG_NS4_IlLl268EEEEEKNS1_INS2_IJNS_7UnMergeINS2_IJS9_S9_S9_S9_NS4_IiLi2EEES9_S9_S5_EEELb0EEEEEESF_NS2_IJNSD_IJLi1ELi2ELi3ELi4ELi5ELi6ELi7ELi8EEEEEEESQ_NS4_IlLl8EEEEELi16ELi128ELi4ELi16ELi16ELi1ELi2ELi4EE6NWavesE
	.p2align	2, 0x0
_ZN2ck53BlockwiseGemmXdlops_k0mk1_k0nk1_m0n0m1n1m2m3m4n2_v1r1ILi256EffKNS_16TensorDescriptorINS_5TupleIJNS_5EmbedINS2_IJNS_17integral_constantIiLi4EEENS4_IiLi16EEES5_EEENS2_IJNS4_IiLi68EEES5_NS4_IiLi1EEEEEELb0EEEEEENS2_IJNS_8SequenceIJLi0EEEEEEENS2_IJNSD_IJLi1ELi2ELi3EEEEEEESG_NS4_IlLl268EEEEEKNS1_INS2_IJNS_7UnMergeINS2_IJS9_S9_S9_S9_NS4_IiLi2EEES9_S9_S5_EEELb0EEEEEESF_NS2_IJNSD_IJLi1ELi2ELi3ELi4ELi5ELi6ELi7ELi8EEEEEEESQ_NS4_IlLl8EEEEELi16ELi128ELi4ELi16ELi16ELi1ELi2ELi4EE6NWavesE:
	.long	4                               ; 0x4
	.size	_ZN2ck53BlockwiseGemmXdlops_k0mk1_k0nk1_m0n0m1n1m2m3m4n2_v1r1ILi256EffKNS_16TensorDescriptorINS_5TupleIJNS_5EmbedINS2_IJNS_17integral_constantIiLi4EEENS4_IiLi16EEES5_EEENS2_IJNS4_IiLi68EEES5_NS4_IiLi1EEEEEELb0EEEEEENS2_IJNS_8SequenceIJLi0EEEEEEENS2_IJNSD_IJLi1ELi2ELi3EEEEEEESG_NS4_IlLl268EEEEEKNS1_INS2_IJNS_7UnMergeINS2_IJS9_S9_S9_S9_NS4_IiLi2EEES9_S9_S5_EEELb0EEEEEESF_NS2_IJNSD_IJLi1ELi2ELi3ELi4ELi5ELi6ELi7ELi8EEEEEEESQ_NS4_IlLl8EEEEELi16ELi128ELi4ELi16ELi16ELi1ELi2ELi4EE6NWavesE, 4

	.protected	_ZN2ck10XdlopsGemmIfLi16ELi16ELi4EfLb0ELb0EE11K0PerXdlopsE ; @_ZN2ck10XdlopsGemmIfLi16ELi16ELi4EfLb0ELb0EE11K0PerXdlopsE
	.type	_ZN2ck10XdlopsGemmIfLi16ELi16ELi4EfLb0ELb0EE11K0PerXdlopsE,@object
	.section	.rodata._ZN2ck10XdlopsGemmIfLi16ELi16ELi4EfLb0ELb0EE11K0PerXdlopsE,"aG",@progbits,_ZN2ck10XdlopsGemmIfLi16ELi16ELi4EfLb0ELb0EE11K0PerXdlopsE,comdat
	.weak	_ZN2ck10XdlopsGemmIfLi16ELi16ELi4EfLb0ELb0EE11K0PerXdlopsE
	.p2align	2, 0x0
_ZN2ck10XdlopsGemmIfLi16ELi16ELi4EfLb0ELb0EE11K0PerXdlopsE:
	.long	4                               ; 0x4
	.size	_ZN2ck10XdlopsGemmIfLi16ELi16ELi4EfLb0ELb0EE11K0PerXdlopsE, 4

	.protected	_ZN2ck48GridwiseGemm_k0mk1_k0nk1_mn_xdlops_skip_b_lds_v1ILi256EfffLNS_25InMemoryDataOperationEnumE0ENS_16TensorDescriptorINS_5TupleIJNS_5EmbedINS3_IJiiEEENS3_IJiNS_17integral_constantIiLi1EEEEEELb0EEENS_7UnMergeINS3_IJiNS6_IiLi4EEEEEELb0EEENS_11PassThroughIiEEEEENS3_IJNS_8SequenceIJLi0EEEENSH_IJLi2EEEENSH_IJLi1EEEEEEENS3_IJNSH_IJLi1ELi2EEEENSH_IJLi3ELi4EEEENSH_IJLi5EEEEEEENSH_IJLi3ELi5ELi4EEEElEENS2_INS3_IJNS4_IS5_NS3_IJS7_iEEELb0EEESD_SF_EEENS3_IJSI_SK_SJ_EEESP_SQ_lEENS2_INS3_IJS9_SF_SF_EEESV_NS3_IJSM_NSH_IJLi3EEEENSH_IJLi4EEEEEEESN_lEENS_16tensor_operation12element_wise11PassThroughES14_S14_Li16ELi128ELi4ELi16ELi16ELi4ELi1ELi2ENSH_IJLi16ELi16ELi1EEEENSH_IJLi1ELi0ELi2EEEES16_Li2ELi4ELi4ELb0ELb1ELi4ELb0ELi4ENSH_IJLi0ELi2ELi4ELi5ELi6ELi1ELi3ELi7EEEELi7ELi1EE11K0PerThreadE ; @_ZN2ck48GridwiseGemm_k0mk1_k0nk1_mn_xdlops_skip_b_lds_v1ILi256EfffLNS_25InMemoryDataOperationEnumE0ENS_16TensorDescriptorINS_5TupleIJNS_5EmbedINS3_IJiiEEENS3_IJiNS_17integral_constantIiLi1EEEEEELb0EEENS_7UnMergeINS3_IJiNS6_IiLi4EEEEEELb0EEENS_11PassThroughIiEEEEENS3_IJNS_8SequenceIJLi0EEEENSH_IJLi2EEEENSH_IJLi1EEEEEEENS3_IJNSH_IJLi1ELi2EEEENSH_IJLi3ELi4EEEENSH_IJLi5EEEEEEENSH_IJLi3ELi5ELi4EEEElEENS2_INS3_IJNS4_IS5_NS3_IJS7_iEEELb0EEESD_SF_EEENS3_IJSI_SK_SJ_EEESP_SQ_lEENS2_INS3_IJS9_SF_SF_EEESV_NS3_IJSM_NSH_IJLi3EEEENSH_IJLi4EEEEEEESN_lEENS_16tensor_operation12element_wise11PassThroughES14_S14_Li16ELi128ELi4ELi16ELi16ELi4ELi1ELi2ENSH_IJLi16ELi16ELi1EEEENSH_IJLi1ELi0ELi2EEEES16_Li2ELi4ELi4ELb0ELb1ELi4ELb0ELi4ENSH_IJLi0ELi2ELi4ELi5ELi6ELi1ELi3ELi7EEEELi7ELi1EE11K0PerThreadE
	.type	_ZN2ck48GridwiseGemm_k0mk1_k0nk1_mn_xdlops_skip_b_lds_v1ILi256EfffLNS_25InMemoryDataOperationEnumE0ENS_16TensorDescriptorINS_5TupleIJNS_5EmbedINS3_IJiiEEENS3_IJiNS_17integral_constantIiLi1EEEEEELb0EEENS_7UnMergeINS3_IJiNS6_IiLi4EEEEEELb0EEENS_11PassThroughIiEEEEENS3_IJNS_8SequenceIJLi0EEEENSH_IJLi2EEEENSH_IJLi1EEEEEEENS3_IJNSH_IJLi1ELi2EEEENSH_IJLi3ELi4EEEENSH_IJLi5EEEEEEENSH_IJLi3ELi5ELi4EEEElEENS2_INS3_IJNS4_IS5_NS3_IJS7_iEEELb0EEESD_SF_EEENS3_IJSI_SK_SJ_EEESP_SQ_lEENS2_INS3_IJS9_SF_SF_EEESV_NS3_IJSM_NSH_IJLi3EEEENSH_IJLi4EEEEEEESN_lEENS_16tensor_operation12element_wise11PassThroughES14_S14_Li16ELi128ELi4ELi16ELi16ELi4ELi1ELi2ENSH_IJLi16ELi16ELi1EEEENSH_IJLi1ELi0ELi2EEEES16_Li2ELi4ELi4ELb0ELb1ELi4ELb0ELi4ENSH_IJLi0ELi2ELi4ELi5ELi6ELi1ELi3ELi7EEEELi7ELi1EE11K0PerThreadE,@object
	.section	.rodata._ZN2ck48GridwiseGemm_k0mk1_k0nk1_mn_xdlops_skip_b_lds_v1ILi256EfffLNS_25InMemoryDataOperationEnumE0ENS_16TensorDescriptorINS_5TupleIJNS_5EmbedINS3_IJiiEEENS3_IJiNS_17integral_constantIiLi1EEEEEELb0EEENS_7UnMergeINS3_IJiNS6_IiLi4EEEEEELb0EEENS_11PassThroughIiEEEEENS3_IJNS_8SequenceIJLi0EEEENSH_IJLi2EEEENSH_IJLi1EEEEEEENS3_IJNSH_IJLi1ELi2EEEENSH_IJLi3ELi4EEEENSH_IJLi5EEEEEEENSH_IJLi3ELi5ELi4EEEElEENS2_INS3_IJNS4_IS5_NS3_IJS7_iEEELb0EEESD_SF_EEENS3_IJSI_SK_SJ_EEESP_SQ_lEENS2_INS3_IJS9_SF_SF_EEESV_NS3_IJSM_NSH_IJLi3EEEENSH_IJLi4EEEEEEESN_lEENS_16tensor_operation12element_wise11PassThroughES14_S14_Li16ELi128ELi4ELi16ELi16ELi4ELi1ELi2ENSH_IJLi16ELi16ELi1EEEENSH_IJLi1ELi0ELi2EEEES16_Li2ELi4ELi4ELb0ELb1ELi4ELb0ELi4ENSH_IJLi0ELi2ELi4ELi5ELi6ELi1ELi3ELi7EEEELi7ELi1EE11K0PerThreadE,"aG",@progbits,_ZN2ck48GridwiseGemm_k0mk1_k0nk1_mn_xdlops_skip_b_lds_v1ILi256EfffLNS_25InMemoryDataOperationEnumE0ENS_16TensorDescriptorINS_5TupleIJNS_5EmbedINS3_IJiiEEENS3_IJiNS_17integral_constantIiLi1EEEEEELb0EEENS_7UnMergeINS3_IJiNS6_IiLi4EEEEEELb0EEENS_11PassThroughIiEEEEENS3_IJNS_8SequenceIJLi0EEEENSH_IJLi2EEEENSH_IJLi1EEEEEEENS3_IJNSH_IJLi1ELi2EEEENSH_IJLi3ELi4EEEENSH_IJLi5EEEEEEENSH_IJLi3ELi5ELi4EEEElEENS2_INS3_IJNS4_IS5_NS3_IJS7_iEEELb0EEESD_SF_EEENS3_IJSI_SK_SJ_EEESP_SQ_lEENS2_INS3_IJS9_SF_SF_EEESV_NS3_IJSM_NSH_IJLi3EEEENSH_IJLi4EEEEEEESN_lEENS_16tensor_operation12element_wise11PassThroughES14_S14_Li16ELi128ELi4ELi16ELi16ELi4ELi1ELi2ENSH_IJLi16ELi16ELi1EEEENSH_IJLi1ELi0ELi2EEEES16_Li2ELi4ELi4ELb0ELb1ELi4ELb0ELi4ENSH_IJLi0ELi2ELi4ELi5ELi6ELi1ELi3ELi7EEEELi7ELi1EE11K0PerThreadE,comdat
	.weak	_ZN2ck48GridwiseGemm_k0mk1_k0nk1_mn_xdlops_skip_b_lds_v1ILi256EfffLNS_25InMemoryDataOperationEnumE0ENS_16TensorDescriptorINS_5TupleIJNS_5EmbedINS3_IJiiEEENS3_IJiNS_17integral_constantIiLi1EEEEEELb0EEENS_7UnMergeINS3_IJiNS6_IiLi4EEEEEELb0EEENS_11PassThroughIiEEEEENS3_IJNS_8SequenceIJLi0EEEENSH_IJLi2EEEENSH_IJLi1EEEEEEENS3_IJNSH_IJLi1ELi2EEEENSH_IJLi3ELi4EEEENSH_IJLi5EEEEEEENSH_IJLi3ELi5ELi4EEEElEENS2_INS3_IJNS4_IS5_NS3_IJS7_iEEELb0EEESD_SF_EEENS3_IJSI_SK_SJ_EEESP_SQ_lEENS2_INS3_IJS9_SF_SF_EEESV_NS3_IJSM_NSH_IJLi3EEEENSH_IJLi4EEEEEEESN_lEENS_16tensor_operation12element_wise11PassThroughES14_S14_Li16ELi128ELi4ELi16ELi16ELi4ELi1ELi2ENSH_IJLi16ELi16ELi1EEEENSH_IJLi1ELi0ELi2EEEES16_Li2ELi4ELi4ELb0ELb1ELi4ELb0ELi4ENSH_IJLi0ELi2ELi4ELi5ELi6ELi1ELi3ELi7EEEELi7ELi1EE11K0PerThreadE
	.p2align	2, 0x0
_ZN2ck48GridwiseGemm_k0mk1_k0nk1_mn_xdlops_skip_b_lds_v1ILi256EfffLNS_25InMemoryDataOperationEnumE0ENS_16TensorDescriptorINS_5TupleIJNS_5EmbedINS3_IJiiEEENS3_IJiNS_17integral_constantIiLi1EEEEEELb0EEENS_7UnMergeINS3_IJiNS6_IiLi4EEEEEELb0EEENS_11PassThroughIiEEEEENS3_IJNS_8SequenceIJLi0EEEENSH_IJLi2EEEENSH_IJLi1EEEEEEENS3_IJNSH_IJLi1ELi2EEEENSH_IJLi3ELi4EEEENSH_IJLi5EEEEEEENSH_IJLi3ELi5ELi4EEEElEENS2_INS3_IJNS4_IS5_NS3_IJS7_iEEELb0EEESD_SF_EEENS3_IJSI_SK_SJ_EEESP_SQ_lEENS2_INS3_IJS9_SF_SF_EEESV_NS3_IJSM_NSH_IJLi3EEEENSH_IJLi4EEEEEEESN_lEENS_16tensor_operation12element_wise11PassThroughES14_S14_Li16ELi128ELi4ELi16ELi16ELi4ELi1ELi2ENSH_IJLi16ELi16ELi1EEEENSH_IJLi1ELi0ELi2EEEES16_Li2ELi4ELi4ELb0ELb1ELi4ELb0ELi4ENSH_IJLi0ELi2ELi4ELi5ELi6ELi1ELi3ELi7EEEELi7ELi1EE11K0PerThreadE:
	.long	1                               ; 0x1
	.size	_ZN2ck48GridwiseGemm_k0mk1_k0nk1_mn_xdlops_skip_b_lds_v1ILi256EfffLNS_25InMemoryDataOperationEnumE0ENS_16TensorDescriptorINS_5TupleIJNS_5EmbedINS3_IJiiEEENS3_IJiNS_17integral_constantIiLi1EEEEEELb0EEENS_7UnMergeINS3_IJiNS6_IiLi4EEEEEELb0EEENS_11PassThroughIiEEEEENS3_IJNS_8SequenceIJLi0EEEENSH_IJLi2EEEENSH_IJLi1EEEEEEENS3_IJNSH_IJLi1ELi2EEEENSH_IJLi3ELi4EEEENSH_IJLi5EEEEEEENSH_IJLi3ELi5ELi4EEEElEENS2_INS3_IJNS4_IS5_NS3_IJS7_iEEELb0EEESD_SF_EEENS3_IJSI_SK_SJ_EEESP_SQ_lEENS2_INS3_IJS9_SF_SF_EEESV_NS3_IJSM_NSH_IJLi3EEEENSH_IJLi4EEEEEEESN_lEENS_16tensor_operation12element_wise11PassThroughES14_S14_Li16ELi128ELi4ELi16ELi16ELi4ELi1ELi2ENSH_IJLi16ELi16ELi1EEEENSH_IJLi1ELi0ELi2EEEES16_Li2ELi4ELi4ELb0ELb1ELi4ELb0ELi4ENSH_IJLi0ELi2ELi4ELi5ELi6ELi1ELi3ELi7EEEELi7ELi1EE11K0PerThreadE, 4

	.protected	_ZN2ck48GridwiseGemm_k0mk1_k0nk1_mn_xdlops_skip_b_lds_v1ILi256EfffLNS_25InMemoryDataOperationEnumE0ENS_16TensorDescriptorINS_5TupleIJNS_5EmbedINS3_IJiiEEENS3_IJiNS_17integral_constantIiLi1EEEEEELb0EEENS_7UnMergeINS3_IJiNS6_IiLi4EEEEEELb0EEENS_11PassThroughIiEEEEENS3_IJNS_8SequenceIJLi0EEEENSH_IJLi2EEEENSH_IJLi1EEEEEEENS3_IJNSH_IJLi1ELi2EEEENSH_IJLi3ELi4EEEENSH_IJLi5EEEEEEENSH_IJLi3ELi5ELi4EEEElEENS2_INS3_IJNS4_IS5_NS3_IJS7_iEEELb0EEESD_SF_EEENS3_IJSI_SK_SJ_EEESP_SQ_lEENS2_INS3_IJS9_SF_SF_EEESV_NS3_IJSM_NSH_IJLi3EEEENSH_IJLi4EEEEEEESN_lEENS_16tensor_operation12element_wise11PassThroughES14_S14_Li16ELi128ELi4ELi16ELi16ELi4ELi1ELi2ENSH_IJLi16ELi16ELi1EEEENSH_IJLi1ELi0ELi2EEEES16_Li2ELi4ELi4ELb0ELb1ELi4ELb0ELi4ENSH_IJLi0ELi2ELi4ELi5ELi6ELi1ELi3ELi7EEEELi7ELi1EE6NWavesE ; @_ZN2ck48GridwiseGemm_k0mk1_k0nk1_mn_xdlops_skip_b_lds_v1ILi256EfffLNS_25InMemoryDataOperationEnumE0ENS_16TensorDescriptorINS_5TupleIJNS_5EmbedINS3_IJiiEEENS3_IJiNS_17integral_constantIiLi1EEEEEELb0EEENS_7UnMergeINS3_IJiNS6_IiLi4EEEEEELb0EEENS_11PassThroughIiEEEEENS3_IJNS_8SequenceIJLi0EEEENSH_IJLi2EEEENSH_IJLi1EEEEEEENS3_IJNSH_IJLi1ELi2EEEENSH_IJLi3ELi4EEEENSH_IJLi5EEEEEEENSH_IJLi3ELi5ELi4EEEElEENS2_INS3_IJNS4_IS5_NS3_IJS7_iEEELb0EEESD_SF_EEENS3_IJSI_SK_SJ_EEESP_SQ_lEENS2_INS3_IJS9_SF_SF_EEESV_NS3_IJSM_NSH_IJLi3EEEENSH_IJLi4EEEEEEESN_lEENS_16tensor_operation12element_wise11PassThroughES14_S14_Li16ELi128ELi4ELi16ELi16ELi4ELi1ELi2ENSH_IJLi16ELi16ELi1EEEENSH_IJLi1ELi0ELi2EEEES16_Li2ELi4ELi4ELb0ELb1ELi4ELb0ELi4ENSH_IJLi0ELi2ELi4ELi5ELi6ELi1ELi3ELi7EEEELi7ELi1EE6NWavesE
	.type	_ZN2ck48GridwiseGemm_k0mk1_k0nk1_mn_xdlops_skip_b_lds_v1ILi256EfffLNS_25InMemoryDataOperationEnumE0ENS_16TensorDescriptorINS_5TupleIJNS_5EmbedINS3_IJiiEEENS3_IJiNS_17integral_constantIiLi1EEEEEELb0EEENS_7UnMergeINS3_IJiNS6_IiLi4EEEEEELb0EEENS_11PassThroughIiEEEEENS3_IJNS_8SequenceIJLi0EEEENSH_IJLi2EEEENSH_IJLi1EEEEEEENS3_IJNSH_IJLi1ELi2EEEENSH_IJLi3ELi4EEEENSH_IJLi5EEEEEEENSH_IJLi3ELi5ELi4EEEElEENS2_INS3_IJNS4_IS5_NS3_IJS7_iEEELb0EEESD_SF_EEENS3_IJSI_SK_SJ_EEESP_SQ_lEENS2_INS3_IJS9_SF_SF_EEESV_NS3_IJSM_NSH_IJLi3EEEENSH_IJLi4EEEEEEESN_lEENS_16tensor_operation12element_wise11PassThroughES14_S14_Li16ELi128ELi4ELi16ELi16ELi4ELi1ELi2ENSH_IJLi16ELi16ELi1EEEENSH_IJLi1ELi0ELi2EEEES16_Li2ELi4ELi4ELb0ELb1ELi4ELb0ELi4ENSH_IJLi0ELi2ELi4ELi5ELi6ELi1ELi3ELi7EEEELi7ELi1EE6NWavesE,@object
	.section	.rodata._ZN2ck48GridwiseGemm_k0mk1_k0nk1_mn_xdlops_skip_b_lds_v1ILi256EfffLNS_25InMemoryDataOperationEnumE0ENS_16TensorDescriptorINS_5TupleIJNS_5EmbedINS3_IJiiEEENS3_IJiNS_17integral_constantIiLi1EEEEEELb0EEENS_7UnMergeINS3_IJiNS6_IiLi4EEEEEELb0EEENS_11PassThroughIiEEEEENS3_IJNS_8SequenceIJLi0EEEENSH_IJLi2EEEENSH_IJLi1EEEEEEENS3_IJNSH_IJLi1ELi2EEEENSH_IJLi3ELi4EEEENSH_IJLi5EEEEEEENSH_IJLi3ELi5ELi4EEEElEENS2_INS3_IJNS4_IS5_NS3_IJS7_iEEELb0EEESD_SF_EEENS3_IJSI_SK_SJ_EEESP_SQ_lEENS2_INS3_IJS9_SF_SF_EEESV_NS3_IJSM_NSH_IJLi3EEEENSH_IJLi4EEEEEEESN_lEENS_16tensor_operation12element_wise11PassThroughES14_S14_Li16ELi128ELi4ELi16ELi16ELi4ELi1ELi2ENSH_IJLi16ELi16ELi1EEEENSH_IJLi1ELi0ELi2EEEES16_Li2ELi4ELi4ELb0ELb1ELi4ELb0ELi4ENSH_IJLi0ELi2ELi4ELi5ELi6ELi1ELi3ELi7EEEELi7ELi1EE6NWavesE,"aG",@progbits,_ZN2ck48GridwiseGemm_k0mk1_k0nk1_mn_xdlops_skip_b_lds_v1ILi256EfffLNS_25InMemoryDataOperationEnumE0ENS_16TensorDescriptorINS_5TupleIJNS_5EmbedINS3_IJiiEEENS3_IJiNS_17integral_constantIiLi1EEEEEELb0EEENS_7UnMergeINS3_IJiNS6_IiLi4EEEEEELb0EEENS_11PassThroughIiEEEEENS3_IJNS_8SequenceIJLi0EEEENSH_IJLi2EEEENSH_IJLi1EEEEEEENS3_IJNSH_IJLi1ELi2EEEENSH_IJLi3ELi4EEEENSH_IJLi5EEEEEEENSH_IJLi3ELi5ELi4EEEElEENS2_INS3_IJNS4_IS5_NS3_IJS7_iEEELb0EEESD_SF_EEENS3_IJSI_SK_SJ_EEESP_SQ_lEENS2_INS3_IJS9_SF_SF_EEESV_NS3_IJSM_NSH_IJLi3EEEENSH_IJLi4EEEEEEESN_lEENS_16tensor_operation12element_wise11PassThroughES14_S14_Li16ELi128ELi4ELi16ELi16ELi4ELi1ELi2ENSH_IJLi16ELi16ELi1EEEENSH_IJLi1ELi0ELi2EEEES16_Li2ELi4ELi4ELb0ELb1ELi4ELb0ELi4ENSH_IJLi0ELi2ELi4ELi5ELi6ELi1ELi3ELi7EEEELi7ELi1EE6NWavesE,comdat
	.weak	_ZN2ck48GridwiseGemm_k0mk1_k0nk1_mn_xdlops_skip_b_lds_v1ILi256EfffLNS_25InMemoryDataOperationEnumE0ENS_16TensorDescriptorINS_5TupleIJNS_5EmbedINS3_IJiiEEENS3_IJiNS_17integral_constantIiLi1EEEEEELb0EEENS_7UnMergeINS3_IJiNS6_IiLi4EEEEEELb0EEENS_11PassThroughIiEEEEENS3_IJNS_8SequenceIJLi0EEEENSH_IJLi2EEEENSH_IJLi1EEEEEEENS3_IJNSH_IJLi1ELi2EEEENSH_IJLi3ELi4EEEENSH_IJLi5EEEEEEENSH_IJLi3ELi5ELi4EEEElEENS2_INS3_IJNS4_IS5_NS3_IJS7_iEEELb0EEESD_SF_EEENS3_IJSI_SK_SJ_EEESP_SQ_lEENS2_INS3_IJS9_SF_SF_EEESV_NS3_IJSM_NSH_IJLi3EEEENSH_IJLi4EEEEEEESN_lEENS_16tensor_operation12element_wise11PassThroughES14_S14_Li16ELi128ELi4ELi16ELi16ELi4ELi1ELi2ENSH_IJLi16ELi16ELi1EEEENSH_IJLi1ELi0ELi2EEEES16_Li2ELi4ELi4ELb0ELb1ELi4ELb0ELi4ENSH_IJLi0ELi2ELi4ELi5ELi6ELi1ELi3ELi7EEEELi7ELi1EE6NWavesE
	.p2align	2, 0x0
_ZN2ck48GridwiseGemm_k0mk1_k0nk1_mn_xdlops_skip_b_lds_v1ILi256EfffLNS_25InMemoryDataOperationEnumE0ENS_16TensorDescriptorINS_5TupleIJNS_5EmbedINS3_IJiiEEENS3_IJiNS_17integral_constantIiLi1EEEEEELb0EEENS_7UnMergeINS3_IJiNS6_IiLi4EEEEEELb0EEENS_11PassThroughIiEEEEENS3_IJNS_8SequenceIJLi0EEEENSH_IJLi2EEEENSH_IJLi1EEEEEEENS3_IJNSH_IJLi1ELi2EEEENSH_IJLi3ELi4EEEENSH_IJLi5EEEEEEENSH_IJLi3ELi5ELi4EEEElEENS2_INS3_IJNS4_IS5_NS3_IJS7_iEEELb0EEESD_SF_EEENS3_IJSI_SK_SJ_EEESP_SQ_lEENS2_INS3_IJS9_SF_SF_EEESV_NS3_IJSM_NSH_IJLi3EEEENSH_IJLi4EEEEEEESN_lEENS_16tensor_operation12element_wise11PassThroughES14_S14_Li16ELi128ELi4ELi16ELi16ELi4ELi1ELi2ENSH_IJLi16ELi16ELi1EEEENSH_IJLi1ELi0ELi2EEEES16_Li2ELi4ELi4ELb0ELb1ELi4ELb0ELi4ENSH_IJLi0ELi2ELi4ELi5ELi6ELi1ELi3ELi7EEEELi7ELi1EE6NWavesE:
	.long	4                               ; 0x4
	.size	_ZN2ck48GridwiseGemm_k0mk1_k0nk1_mn_xdlops_skip_b_lds_v1ILi256EfffLNS_25InMemoryDataOperationEnumE0ENS_16TensorDescriptorINS_5TupleIJNS_5EmbedINS3_IJiiEEENS3_IJiNS_17integral_constantIiLi1EEEEEELb0EEENS_7UnMergeINS3_IJiNS6_IiLi4EEEEEELb0EEENS_11PassThroughIiEEEEENS3_IJNS_8SequenceIJLi0EEEENSH_IJLi2EEEENSH_IJLi1EEEEEEENS3_IJNSH_IJLi1ELi2EEEENSH_IJLi3ELi4EEEENSH_IJLi5EEEEEEENSH_IJLi3ELi5ELi4EEEElEENS2_INS3_IJNS4_IS5_NS3_IJS7_iEEELb0EEESD_SF_EEENS3_IJSI_SK_SJ_EEESP_SQ_lEENS2_INS3_IJS9_SF_SF_EEESV_NS3_IJSM_NSH_IJLi3EEEENSH_IJLi4EEEEEEESN_lEENS_16tensor_operation12element_wise11PassThroughES14_S14_Li16ELi128ELi4ELi16ELi16ELi4ELi1ELi2ENSH_IJLi16ELi16ELi1EEEENSH_IJLi1ELi0ELi2EEEES16_Li2ELi4ELi4ELb0ELb1ELi4ELb0ELi4ENSH_IJLi0ELi2ELi4ELi5ELi6ELi1ELi3ELi7EEEELi7ELi1EE6NWavesE, 4

	.type	__hip_cuid_737b975277705dbc,@object ; @__hip_cuid_737b975277705dbc
	.section	.bss,"aw",@nobits
	.globl	__hip_cuid_737b975277705dbc
__hip_cuid_737b975277705dbc:
	.byte	0                               ; 0x0
	.size	__hip_cuid_737b975277705dbc, 1

	.ident	"AMD clang version 22.0.0git (https://github.com/RadeonOpenCompute/llvm-project roc-7.2.4 26084 f58b06dce1f9c15707c5f808fd002e18c2accf7e)"
	.section	".note.GNU-stack","",@progbits
	.addrsig
	.addrsig_sym __hip_cuid_737b975277705dbc
	.amdgpu_metadata
---
amdhsa.kernels:
  - .agpr_count:     0
    .args:           []
    .group_segment_fixed_size: 0
    .kernarg_segment_align: 4
    .kernarg_segment_size: 0
    .language:       OpenCL C
    .language_version:
      - 2
      - 0
    .max_flat_workgroup_size: 1024
    .name:           _ZN2ckL12flush_icacheEv
    .private_segment_fixed_size: 0
    .sgpr_count:     6
    .sgpr_spill_count: 0
    .symbol:         _ZN2ckL12flush_icacheEv.kd
    .uniform_work_group_size: 1
    .uses_dynamic_stack: false
    .vgpr_count:     0
    .vgpr_spill_count: 0
    .wavefront_size: 64
  - .agpr_count:     0
    .args:
      - .actual_access:  read_only
        .address_space:  global
        .offset:         0
        .size:           8
        .value_kind:     global_buffer
      - .actual_access:  read_only
        .address_space:  global
        .offset:         8
        .size:           8
        .value_kind:     global_buffer
      - .actual_access:  write_only
        .address_space:  global
        .offset:         16
        .size:           8
        .value_kind:     global_buffer
      - .offset:         24
        .size:           48
        .value_kind:     by_value
      - .offset:         72
        .size:           48
        .value_kind:     by_value
      - .offset:         120
        .size:           40
        .value_kind:     by_value
      - .offset:         160
        .size:           1
        .value_kind:     by_value
      - .offset:         161
        .size:           1
        .value_kind:     by_value
      - .offset:         162
        .size:           1
        .value_kind:     by_value
      - .offset:         164
        .size:           88
        .value_kind:     by_value
    .group_segment_fixed_size: 1072
    .kernarg_segment_align: 8
    .kernarg_segment_size: 252
    .language:       OpenCL C
    .language_version:
      - 2
      - 0
    .max_flat_workgroup_size: 256
    .name:           _ZN2ck32kernel_gemm_xdlops_skip_b_lds_v1INS_48GridwiseGemm_k0mk1_k0nk1_mn_xdlops_skip_b_lds_v1ILi256EfffLNS_25InMemoryDataOperationEnumE0ENS_16TensorDescriptorINS_5TupleIJNS_5EmbedINS4_IJiiEEENS4_IJiNS_17integral_constantIiLi1EEEEEELb0EEENS_7UnMergeINS4_IJiNS7_IiLi4EEEEEELb0EEENS_11PassThroughIiEEEEENS4_IJNS_8SequenceIJLi0EEEENSI_IJLi2EEEENSI_IJLi1EEEEEEENS4_IJNSI_IJLi1ELi2EEEENSI_IJLi3ELi4EEEENSI_IJLi5EEEEEEENSI_IJLi3ELi5ELi4EEEElEENS3_INS4_IJNS5_IS6_NS4_IJS8_iEEELb0EEESE_SG_EEENS4_IJSJ_SL_SK_EEESQ_SR_lEENS3_INS4_IJSA_SG_SG_EEESW_NS4_IJSN_NSI_IJLi3EEEENSI_IJLi4EEEEEEESO_lEENS_16tensor_operation12element_wise11PassThroughES15_S15_Li16ELi128ELi4ELi16ELi16ELi4ELi1ELi2ENSI_IJLi16ELi16ELi1EEEENSI_IJLi1ELi0ELi2EEEES17_Li2ELi4ELi4ELb0ELb1ELi4ELb0ELi4ENSI_IJLi0ELi2ELi4ELi5ELi6ELi1ELi3ELi7EEEELi7ELi1EEEffSS_SX_S12_S15_S15_S15_NS_13TensorAdaptorINS4_IJNSB_IS6_Lb0EEES1B_NS_23Merge_v2_magic_divisionINS4_IJiiiiEEEEEEEENS4_IJSJ_SL_NSI_IJLi2ELi3ELi4ELi5EEEEEEENS4_IJNSI_IJLi2ELi4EEEENSI_IJLi3ELi5EEEENSI_IJLi6EEEEEEENSI_IJLi0ELi1EEEES1K_EELb1EEEvPKT0_S1Q_PT1_T2_T3_T4_T5_T6_T7_T8_
    .private_segment_fixed_size: 0
    .sgpr_count:     35
    .sgpr_spill_count: 0
    .symbol:         _ZN2ck32kernel_gemm_xdlops_skip_b_lds_v1INS_48GridwiseGemm_k0mk1_k0nk1_mn_xdlops_skip_b_lds_v1ILi256EfffLNS_25InMemoryDataOperationEnumE0ENS_16TensorDescriptorINS_5TupleIJNS_5EmbedINS4_IJiiEEENS4_IJiNS_17integral_constantIiLi1EEEEEELb0EEENS_7UnMergeINS4_IJiNS7_IiLi4EEEEEELb0EEENS_11PassThroughIiEEEEENS4_IJNS_8SequenceIJLi0EEEENSI_IJLi2EEEENSI_IJLi1EEEEEEENS4_IJNSI_IJLi1ELi2EEEENSI_IJLi3ELi4EEEENSI_IJLi5EEEEEEENSI_IJLi3ELi5ELi4EEEElEENS3_INS4_IJNS5_IS6_NS4_IJS8_iEEELb0EEESE_SG_EEENS4_IJSJ_SL_SK_EEESQ_SR_lEENS3_INS4_IJSA_SG_SG_EEESW_NS4_IJSN_NSI_IJLi3EEEENSI_IJLi4EEEEEEESO_lEENS_16tensor_operation12element_wise11PassThroughES15_S15_Li16ELi128ELi4ELi16ELi16ELi4ELi1ELi2ENSI_IJLi16ELi16ELi1EEEENSI_IJLi1ELi0ELi2EEEES17_Li2ELi4ELi4ELb0ELb1ELi4ELb0ELi4ENSI_IJLi0ELi2ELi4ELi5ELi6ELi1ELi3ELi7EEEELi7ELi1EEEffSS_SX_S12_S15_S15_S15_NS_13TensorAdaptorINS4_IJNSB_IS6_Lb0EEES1B_NS_23Merge_v2_magic_divisionINS4_IJiiiiEEEEEEEENS4_IJSJ_SL_NSI_IJLi2ELi3ELi4ELi5EEEEEEENS4_IJNSI_IJLi2ELi4EEEENSI_IJLi3ELi5EEEENSI_IJLi6EEEEEEENSI_IJLi0ELi1EEEES1K_EELb1EEEvPKT0_S1Q_PT1_T2_T3_T4_T5_T6_T7_T8_.kd
    .uniform_work_group_size: 1
    .uses_dynamic_stack: false
    .vgpr_count:     64
    .vgpr_spill_count: 0
    .wavefront_size: 64
  - .agpr_count:     0
    .args:
      - .actual_access:  read_only
        .address_space:  global
        .offset:         0
        .size:           8
        .value_kind:     global_buffer
      - .actual_access:  read_only
        .address_space:  global
        .offset:         8
        .size:           8
        .value_kind:     global_buffer
      - .actual_access:  write_only
        .address_space:  global
        .offset:         16
        .size:           8
        .value_kind:     global_buffer
      - .offset:         24
        .size:           48
        .value_kind:     by_value
      - .offset:         72
        .size:           48
        .value_kind:     by_value
      - .offset:         120
        .size:           40
        .value_kind:     by_value
      - .offset:         160
        .size:           1
        .value_kind:     by_value
      - .offset:         161
        .size:           1
        .value_kind:     by_value
      - .offset:         162
        .size:           1
        .value_kind:     by_value
      - .offset:         164
        .size:           88
        .value_kind:     by_value
    .group_segment_fixed_size: 1072
    .kernarg_segment_align: 8
    .kernarg_segment_size: 252
    .language:       OpenCL C
    .language_version:
      - 2
      - 0
    .max_flat_workgroup_size: 256
    .name:           _ZN2ck32kernel_gemm_xdlops_skip_b_lds_v1INS_48GridwiseGemm_k0mk1_k0nk1_mn_xdlops_skip_b_lds_v1ILi256EfffLNS_25InMemoryDataOperationEnumE0ENS_16TensorDescriptorINS_5TupleIJNS_5EmbedINS4_IJiiEEENS4_IJiNS_17integral_constantIiLi1EEEEEELb0EEENS_7UnMergeINS4_IJiNS7_IiLi4EEEEEELb0EEENS_11PassThroughIiEEEEENS4_IJNS_8SequenceIJLi0EEEENSI_IJLi2EEEENSI_IJLi1EEEEEEENS4_IJNSI_IJLi1ELi2EEEENSI_IJLi3ELi4EEEENSI_IJLi5EEEEEEENSI_IJLi3ELi5ELi4EEEElEENS3_INS4_IJNS5_IS6_NS4_IJS8_iEEELb0EEESE_SG_EEENS4_IJSJ_SL_SK_EEESQ_SR_lEENS3_INS4_IJSA_SG_SG_EEESW_NS4_IJSN_NSI_IJLi3EEEENSI_IJLi4EEEEEEESO_lEENS_16tensor_operation12element_wise11PassThroughES15_S15_Li16ELi128ELi4ELi16ELi16ELi4ELi1ELi2ENSI_IJLi16ELi16ELi1EEEENSI_IJLi1ELi0ELi2EEEES17_Li2ELi4ELi4ELb0ELb1ELi4ELb0ELi4ENSI_IJLi0ELi2ELi4ELi5ELi6ELi1ELi3ELi7EEEELi7ELi1EEEffSS_SX_S12_S15_S15_S15_NS_13TensorAdaptorINS4_IJNSB_IS6_Lb0EEES1B_NS_23Merge_v2_magic_divisionINS4_IJiiiiEEEEEEEENS4_IJSJ_SL_NSI_IJLi2ELi3ELi4ELi5EEEEEEENS4_IJNSI_IJLi2ELi4EEEENSI_IJLi3ELi5EEEENSI_IJLi6EEEEEEENSI_IJLi0ELi1EEEES1K_EELb0EEEvPKT0_S1Q_PT1_T2_T3_T4_T5_T6_T7_T8_
    .private_segment_fixed_size: 0
    .sgpr_count:     30
    .sgpr_spill_count: 0
    .symbol:         _ZN2ck32kernel_gemm_xdlops_skip_b_lds_v1INS_48GridwiseGemm_k0mk1_k0nk1_mn_xdlops_skip_b_lds_v1ILi256EfffLNS_25InMemoryDataOperationEnumE0ENS_16TensorDescriptorINS_5TupleIJNS_5EmbedINS4_IJiiEEENS4_IJiNS_17integral_constantIiLi1EEEEEELb0EEENS_7UnMergeINS4_IJiNS7_IiLi4EEEEEELb0EEENS_11PassThroughIiEEEEENS4_IJNS_8SequenceIJLi0EEEENSI_IJLi2EEEENSI_IJLi1EEEEEEENS4_IJNSI_IJLi1ELi2EEEENSI_IJLi3ELi4EEEENSI_IJLi5EEEEEEENSI_IJLi3ELi5ELi4EEEElEENS3_INS4_IJNS5_IS6_NS4_IJS8_iEEELb0EEESE_SG_EEENS4_IJSJ_SL_SK_EEESQ_SR_lEENS3_INS4_IJSA_SG_SG_EEESW_NS4_IJSN_NSI_IJLi3EEEENSI_IJLi4EEEEEEESO_lEENS_16tensor_operation12element_wise11PassThroughES15_S15_Li16ELi128ELi4ELi16ELi16ELi4ELi1ELi2ENSI_IJLi16ELi16ELi1EEEENSI_IJLi1ELi0ELi2EEEES17_Li2ELi4ELi4ELb0ELb1ELi4ELb0ELi4ENSI_IJLi0ELi2ELi4ELi5ELi6ELi1ELi3ELi7EEEELi7ELi1EEEffSS_SX_S12_S15_S15_S15_NS_13TensorAdaptorINS4_IJNSB_IS6_Lb0EEES1B_NS_23Merge_v2_magic_divisionINS4_IJiiiiEEEEEEEENS4_IJSJ_SL_NSI_IJLi2ELi3ELi4ELi5EEEEEEENS4_IJNSI_IJLi2ELi4EEEENSI_IJLi3ELi5EEEENSI_IJLi6EEEEEEENSI_IJLi0ELi1EEEES1K_EELb0EEEvPKT0_S1Q_PT1_T2_T3_T4_T5_T6_T7_T8_.kd
    .uniform_work_group_size: 1
    .uses_dynamic_stack: false
    .vgpr_count:     53
    .vgpr_spill_count: 0
    .wavefront_size: 64
  - .agpr_count:     0
    .args:
      - .actual_access:  read_only
        .address_space:  global
        .offset:         0
        .size:           8
        .value_kind:     global_buffer
      - .actual_access:  read_only
        .address_space:  global
        .offset:         8
        .size:           8
        .value_kind:     global_buffer
      - .actual_access:  read_only
        .address_space:  global
        .offset:         16
        .size:           8
        .value_kind:     global_buffer
      - .offset:         24
        .size:           48
        .value_kind:     by_value
      - .offset:         72
        .size:           48
        .value_kind:     by_value
      - .offset:         120
        .size:           40
        .value_kind:     by_value
      - .offset:         160
        .size:           1
        .value_kind:     by_value
      - .offset:         161
        .size:           1
        .value_kind:     by_value
      - .offset:         162
        .size:           1
        .value_kind:     by_value
      - .offset:         164
        .size:           88
        .value_kind:     by_value
    .group_segment_fixed_size: 0
    .kernarg_segment_align: 8
    .kernarg_segment_size: 252
    .language:       OpenCL C
    .language_version:
      - 2
      - 0
    .max_flat_workgroup_size: 256
    .name:           _ZN2ck32kernel_gemm_xdlops_skip_b_lds_v1INS_48GridwiseGemm_k0mk1_k0nk1_mn_xdlops_skip_b_lds_v1ILi256EfffLNS_25InMemoryDataOperationEnumE0ENS_16TensorDescriptorINS_5TupleIJNS_5EmbedINS4_IJiiEEENS4_IJiNS_17integral_constantIiLi1EEEEEELb0EEENS_7UnMergeINS4_IJiNS7_IiLi4EEEEEELb0EEENS_11PassThroughIiEEEEENS4_IJNS_8SequenceIJLi0EEEENSI_IJLi2EEEENSI_IJLi1EEEEEEENS4_IJNSI_IJLi1ELi2EEEENSI_IJLi3ELi4EEEENSI_IJLi5EEEEEEENSI_IJLi3ELi5ELi4EEEElEENS3_INS4_IJNS5_IS6_NS4_IJS8_iEEELb0EEESE_SG_EEENS4_IJSJ_SL_SK_EEESQ_SR_lEENS3_INS4_IJSA_SG_SG_EEESW_NS4_IJSN_NSI_IJLi3EEEENSI_IJLi4EEEEEEESO_lEENS_16tensor_operation12element_wise11PassThroughES15_S15_Li16ELi128ELi4ELi16ELi16ELi4ELi1ELi1ENSI_IJLi16ELi16ELi1EEEENSI_IJLi1ELi0ELi2EEEES17_Li2ELi4ELi4ELb0ELb1ELi4ELb0ELi4ENSI_IJLi0ELi2ELi4ELi5ELi6ELi1ELi3ELi7EEEELi7ELi1EEEffSS_SX_S12_S15_S15_S15_NS_13TensorAdaptorINS4_IJNSB_IS6_Lb0EEES1B_NS_23Merge_v2_magic_divisionINS4_IJiiiiEEEEEEEENS4_IJSJ_SL_NSI_IJLi2ELi3ELi4ELi5EEEEEEENS4_IJNSI_IJLi2ELi4EEEENSI_IJLi3ELi5EEEENSI_IJLi6EEEEEEENSI_IJLi0ELi1EEEES1K_EELb1EEEvPKT0_S1Q_PT1_T2_T3_T4_T5_T6_T7_T8_
    .private_segment_fixed_size: 0
    .sgpr_count:     6
    .sgpr_spill_count: 0
    .symbol:         _ZN2ck32kernel_gemm_xdlops_skip_b_lds_v1INS_48GridwiseGemm_k0mk1_k0nk1_mn_xdlops_skip_b_lds_v1ILi256EfffLNS_25InMemoryDataOperationEnumE0ENS_16TensorDescriptorINS_5TupleIJNS_5EmbedINS4_IJiiEEENS4_IJiNS_17integral_constantIiLi1EEEEEELb0EEENS_7UnMergeINS4_IJiNS7_IiLi4EEEEEELb0EEENS_11PassThroughIiEEEEENS4_IJNS_8SequenceIJLi0EEEENSI_IJLi2EEEENSI_IJLi1EEEEEEENS4_IJNSI_IJLi1ELi2EEEENSI_IJLi3ELi4EEEENSI_IJLi5EEEEEEENSI_IJLi3ELi5ELi4EEEElEENS3_INS4_IJNS5_IS6_NS4_IJS8_iEEELb0EEESE_SG_EEENS4_IJSJ_SL_SK_EEESQ_SR_lEENS3_INS4_IJSA_SG_SG_EEESW_NS4_IJSN_NSI_IJLi3EEEENSI_IJLi4EEEEEEESO_lEENS_16tensor_operation12element_wise11PassThroughES15_S15_Li16ELi128ELi4ELi16ELi16ELi4ELi1ELi1ENSI_IJLi16ELi16ELi1EEEENSI_IJLi1ELi0ELi2EEEES17_Li2ELi4ELi4ELb0ELb1ELi4ELb0ELi4ENSI_IJLi0ELi2ELi4ELi5ELi6ELi1ELi3ELi7EEEELi7ELi1EEEffSS_SX_S12_S15_S15_S15_NS_13TensorAdaptorINS4_IJNSB_IS6_Lb0EEES1B_NS_23Merge_v2_magic_divisionINS4_IJiiiiEEEEEEEENS4_IJSJ_SL_NSI_IJLi2ELi3ELi4ELi5EEEEEEENS4_IJNSI_IJLi2ELi4EEEENSI_IJLi3ELi5EEEENSI_IJLi6EEEEEEENSI_IJLi0ELi1EEEES1K_EELb1EEEvPKT0_S1Q_PT1_T2_T3_T4_T5_T6_T7_T8_.kd
    .uniform_work_group_size: 1
    .uses_dynamic_stack: false
    .vgpr_count:     0
    .vgpr_spill_count: 0
    .wavefront_size: 64
  - .agpr_count:     0
    .args:
      - .actual_access:  read_only
        .address_space:  global
        .offset:         0
        .size:           8
        .value_kind:     global_buffer
      - .actual_access:  read_only
        .address_space:  global
        .offset:         8
        .size:           8
        .value_kind:     global_buffer
      - .actual_access:  read_only
        .address_space:  global
        .offset:         16
        .size:           8
        .value_kind:     global_buffer
      - .offset:         24
        .size:           48
        .value_kind:     by_value
      - .offset:         72
        .size:           48
        .value_kind:     by_value
      - .offset:         120
        .size:           40
        .value_kind:     by_value
      - .offset:         160
        .size:           1
        .value_kind:     by_value
      - .offset:         161
        .size:           1
        .value_kind:     by_value
      - .offset:         162
        .size:           1
        .value_kind:     by_value
      - .offset:         164
        .size:           88
        .value_kind:     by_value
    .group_segment_fixed_size: 0
    .kernarg_segment_align: 8
    .kernarg_segment_size: 252
    .language:       OpenCL C
    .language_version:
      - 2
      - 0
    .max_flat_workgroup_size: 256
    .name:           _ZN2ck32kernel_gemm_xdlops_skip_b_lds_v1INS_48GridwiseGemm_k0mk1_k0nk1_mn_xdlops_skip_b_lds_v1ILi256EfffLNS_25InMemoryDataOperationEnumE0ENS_16TensorDescriptorINS_5TupleIJNS_5EmbedINS4_IJiiEEENS4_IJiNS_17integral_constantIiLi1EEEEEELb0EEENS_7UnMergeINS4_IJiNS7_IiLi4EEEEEELb0EEENS_11PassThroughIiEEEEENS4_IJNS_8SequenceIJLi0EEEENSI_IJLi2EEEENSI_IJLi1EEEEEEENS4_IJNSI_IJLi1ELi2EEEENSI_IJLi3ELi4EEEENSI_IJLi5EEEEEEENSI_IJLi3ELi5ELi4EEEElEENS3_INS4_IJNS5_IS6_NS4_IJS8_iEEELb0EEESE_SG_EEENS4_IJSJ_SL_SK_EEESQ_SR_lEENS3_INS4_IJSA_SG_SG_EEESW_NS4_IJSN_NSI_IJLi3EEEENSI_IJLi4EEEEEEESO_lEENS_16tensor_operation12element_wise11PassThroughES15_S15_Li16ELi128ELi4ELi16ELi16ELi4ELi1ELi1ENSI_IJLi16ELi16ELi1EEEENSI_IJLi1ELi0ELi2EEEES17_Li2ELi4ELi4ELb0ELb1ELi4ELb0ELi4ENSI_IJLi0ELi2ELi4ELi5ELi6ELi1ELi3ELi7EEEELi7ELi1EEEffSS_SX_S12_S15_S15_S15_NS_13TensorAdaptorINS4_IJNSB_IS6_Lb0EEES1B_NS_23Merge_v2_magic_divisionINS4_IJiiiiEEEEEEEENS4_IJSJ_SL_NSI_IJLi2ELi3ELi4ELi5EEEEEEENS4_IJNSI_IJLi2ELi4EEEENSI_IJLi3ELi5EEEENSI_IJLi6EEEEEEENSI_IJLi0ELi1EEEES1K_EELb0EEEvPKT0_S1Q_PT1_T2_T3_T4_T5_T6_T7_T8_
    .private_segment_fixed_size: 0
    .sgpr_count:     6
    .sgpr_spill_count: 0
    .symbol:         _ZN2ck32kernel_gemm_xdlops_skip_b_lds_v1INS_48GridwiseGemm_k0mk1_k0nk1_mn_xdlops_skip_b_lds_v1ILi256EfffLNS_25InMemoryDataOperationEnumE0ENS_16TensorDescriptorINS_5TupleIJNS_5EmbedINS4_IJiiEEENS4_IJiNS_17integral_constantIiLi1EEEEEELb0EEENS_7UnMergeINS4_IJiNS7_IiLi4EEEEEELb0EEENS_11PassThroughIiEEEEENS4_IJNS_8SequenceIJLi0EEEENSI_IJLi2EEEENSI_IJLi1EEEEEEENS4_IJNSI_IJLi1ELi2EEEENSI_IJLi3ELi4EEEENSI_IJLi5EEEEEEENSI_IJLi3ELi5ELi4EEEElEENS3_INS4_IJNS5_IS6_NS4_IJS8_iEEELb0EEESE_SG_EEENS4_IJSJ_SL_SK_EEESQ_SR_lEENS3_INS4_IJSA_SG_SG_EEESW_NS4_IJSN_NSI_IJLi3EEEENSI_IJLi4EEEEEEESO_lEENS_16tensor_operation12element_wise11PassThroughES15_S15_Li16ELi128ELi4ELi16ELi16ELi4ELi1ELi1ENSI_IJLi16ELi16ELi1EEEENSI_IJLi1ELi0ELi2EEEES17_Li2ELi4ELi4ELb0ELb1ELi4ELb0ELi4ENSI_IJLi0ELi2ELi4ELi5ELi6ELi1ELi3ELi7EEEELi7ELi1EEEffSS_SX_S12_S15_S15_S15_NS_13TensorAdaptorINS4_IJNSB_IS6_Lb0EEES1B_NS_23Merge_v2_magic_divisionINS4_IJiiiiEEEEEEEENS4_IJSJ_SL_NSI_IJLi2ELi3ELi4ELi5EEEEEEENS4_IJNSI_IJLi2ELi4EEEENSI_IJLi3ELi5EEEENSI_IJLi6EEEEEEENSI_IJLi0ELi1EEEES1K_EELb0EEEvPKT0_S1Q_PT1_T2_T3_T4_T5_T6_T7_T8_.kd
    .uniform_work_group_size: 1
    .uses_dynamic_stack: false
    .vgpr_count:     0
    .vgpr_spill_count: 0
    .wavefront_size: 64
amdhsa.target:   amdgcn-amd-amdhsa--gfx950
amdhsa.version:
  - 1
  - 2
...

	.end_amdgpu_metadata
